;; amdgpu-corpus repo=ROCm/aiter kind=harvested arch=n/a opt=n/a

/root/src/amdgpu-assembly/repos/ROCm__aiter/hsa/gfx950/fmoe/gelu/fmoe_fp16_pertokenInt8_g1u0_vs_smf_gelu_1tg_32x512.co:	file format elf64-amdgpu

Disassembly of section .text:

0000000000002e00 <_ZN5aiter50fmoe_fp16_pertokenInt8_g1u0_vs_smf_gelu_1tg_32x512E>:
	s_and_b32 s1, s1, 0xffff                                   // 000000002E00: 8601FF01 0000FFFF
	s_load_dwordx2 s[8:9], s[0:1], 0x0                         // 000000002E08: C0060200 00000000
	s_load_dwordx2 s[20:21], s[0:1], 0x10                      // 000000002E10: C0060500 00000010
	s_load_dwordx2 s[24:25], s[0:1], 0x20                      // 000000002E18: C0060600 00000020
	s_load_dwordx2 s[50:51], s[0:1], 0x30                      // 000000002E20: C0060C80 00000030
	s_load_dwordx2 s[12:13], s[0:1], 0x40                      // 000000002E28: C0060300 00000040
	s_load_dwordx2 s[28:29], s[0:1], 0x50                      // 000000002E30: C0060700 00000050
	s_load_dwordx2 s[32:33], s[0:1], 0x60                      // 000000002E38: C0060800 00000060
	s_load_dwordx2 s[16:17], s[0:1], 0x70                      // 000000002E40: C0060400 00000070
	s_load_dwordx2 s[36:37], s[0:1], 0x80                      // 000000002E48: C0060900 00000080
	s_load_dwordx2 s[44:45], s[0:1], 0x90                      // 000000002E50: C0060B00 00000090
	s_load_dwordx2 s[40:41], s[0:1], 0xa0                      // 000000002E58: C0060A00 000000A0
	s_load_dwordx2 s[46:47], s[0:1], 0xb0                      // 000000002E60: C0060B80 000000B0
	s_load_dword s64, s[0:1], 0xc0                             // 000000002E68: C0021000 000000C0
	s_load_dword s65, s[0:1], 0xd0                             // 000000002E70: C0021040 000000D0
	s_load_dword s66, s[0:1], 0xe0                             // 000000002E78: C0021080 000000E0
	s_load_dword s67, s[0:1], 0xf0                             // 000000002E80: C00210C0 000000F0
	s_load_dword s68, s[0:1], 0x100                            // 000000002E88: C0021100 00000100
	s_load_dword s69, s[0:1], 0x110                            // 000000002E90: C0021140 00000110
	s_load_dword s70, s[0:1], 0x120                            // 000000002E98: C0021180 00000120
	s_load_dword s71, s[0:1], 0x130                            // 000000002EA0: C00211C0 00000130
	s_load_dword s72, s[0:1], 0x140                            // 000000002EA8: C0021200 00000140
	s_load_dword s73, s[0:1], 0x150                            // 000000002EB0: C0021240 00000150
	s_load_dword s74, s[0:1], 0x160                            // 000000002EB8: C0021280 00000160
	s_load_dword s75, s[0:1], 0x170                            // 000000002EC0: C00212C0 00000170
	s_load_dword s76, s[0:1], 0x180                            // 000000002EC8: C0021300 00000180
	s_load_dword s63, s[0:1], 0x190                            // 000000002ED0: C0020FC0 00000190
	v_lshrrev_b32_e32 v1, 10, v0                               // 000000002ED8: 2002008A
	v_lshrrev_b32_e32 v2, 10, v1                               // 000000002EDC: 2004028A
	v_and_b32_e32 v2, 0x3ff, v2                                // 000000002EE0: 260404FF 000003FF
	v_and_b32_e32 v1, 0x3ff, v1                                // 000000002EE8: 260202FF 000003FF
	v_and_b32_e32 v0, 0x3ff, v0                                // 000000002EF0: 260000FF 000003FF
	v_lshrrev_b32_e32 v3, 6, v0                                // 000000002EF8: 20060086
	v_and_b32_e32 v0, 63, v0                                   // 000000002EFC: 260000BF
	s_mov_b32 s60, s2                                          // 000000002F00: BEBC0002
	s_mov_b32 s2, s3                                           // 000000002F04: BE820003
	s_mov_b32 s3, s60                                          // 000000002F08: BE83003C
	v_readfirstlane_b32 s5, v3                                 // 000000002F0C: 7E0A0503
	s_waitcnt lgkmcnt(0)                                       // 000000002F10: BF8CC07F
	s_and_b32 s51, s51, 0xffff                                 // 000000002F14: 8633FF33 0000FFFF
	s_load_dword s50, s[50:51], 0x0                            // 000000002F1C: C0020C99 00000000
	s_and_b32 s45, s45, 0xffff                                 // 000000002F24: 862DFF2D 0000FFFF
	s_and_b32 s47, s47, 0xffff                                 // 000000002F2C: 862FFF2F 0000FFFF
	s_and_b32 s9, s9, 0xffff                                   // 000000002F34: 8609FF09 0000FFFF
	s_mul_i32 s60, s66, s68                                    // 000000002F3C: 923C4442
	s_mov_b32 s22, s60                                         // 000000002F40: BE96003C
	s_mov_b32 s26, -16                                         // 000000002F44: BE9A00D0
	s_mov_b32 s14, -16                                         // 000000002F48: BE8E00D0
	s_mov_b32 s42, -16                                         // 000000002F4C: BEAA00D0
	s_mov_b32 s30, -16                                         // 000000002F50: BE9E00D0
	s_mov_b32 s34, -16                                         // 000000002F54: BEA200D0
	s_mov_b32 s38, -16                                         // 000000002F58: BEA600D0
	s_mov_b32 s18, -16                                         // 000000002F5C: BE9200D0
	s_mov_b32 s23, 0x20000                                     // 000000002F60: BE9700FF 00020000
	s_mov_b32 s27, 0x20000                                     // 000000002F68: BE9B00FF 00020000
	s_mov_b32 s15, 0x20000                                     // 000000002F70: BE8F00FF 00020000
	s_mov_b32 s43, 0x20000                                     // 000000002F78: BEAB00FF 00020000
	s_mov_b32 s31, 0x20000                                     // 000000002F80: BE9F00FF 00020000
	s_mov_b32 s35, 0x20000                                     // 000000002F88: BEA300FF 00020000
	s_mov_b32 s39, 0x20000                                     // 000000002F90: BEA700FF 00020000
	s_mov_b32 s19, 0x20000                                     // 000000002F98: BE9300FF 00020000
	s_and_b32 s21, s21, 0xffff                                 // 000000002FA0: 8615FF15 0000FFFF
	s_and_b32 s25, s25, 0xffff                                 // 000000002FA8: 8619FF19 0000FFFF
	s_and_b32 s13, s13, 0xffff                                 // 000000002FB0: 860DFF0D 0000FFFF
	s_and_b32 s41, s41, 0xffff                                 // 000000002FB8: 8629FF29 0000FFFF
	s_and_b32 s29, s29, 0xffff                                 // 000000002FC0: 861DFF1D 0000FFFF
	s_and_b32 s33, s33, 0xffff                                 // 000000002FC8: 8621FF21 0000FFFF
	s_and_b32 s37, s37, 0xffff                                 // 000000002FD0: 8625FF25 0000FFFF
	s_and_b32 s17, s17, 0xffff                                 // 000000002FD8: 8611FF11 0000FFFF
	s_or_b32 s21, s21, 0x40000                                 // 000000002FE0: 8715FF15 00040000
	s_or_b32 s25, s25, 0x40000                                 // 000000002FE8: 8719FF19 00040000
	s_or_b32 s13, s13, 0x40000                                 // 000000002FF0: 870DFF0D 00040000
	s_or_b32 s41, s41, 0x40000                                 // 000000002FF8: 8729FF29 00040000
	s_or_b32 s29, s29, 0x40000                                 // 000000003000: 871DFF1D 00040000
	s_or_b32 s33, s33, 0x40000                                 // 000000003008: 8721FF21 00040000
	s_or_b32 s37, s37, 0x40000                                 // 000000003010: 8725FF25 00040000
	s_or_b32 s17, s17, 0x40000                                 // 000000003018: 8711FF11 00040000
	v_accvgpr_write_b32 a255, 0                                // 000000003020: D3D940FF 18000080
	v_mov_b32_e32 v255, 0                                      // 000000003028: 7FFE0280
	s_waitcnt lgkmcnt(0)                                       // 00000000302C: BF8CC07F
	s_mul_i32 s60, s3, 32                                      // 000000003030: 923CA003
	s_cmp_lt_i32 s60, s50                                      // 000000003034: BF04323C
	s_cbranch_scc0 label_29C2                                  // 000000003038: BF842933
	s_mov_b32 s80, 0                                           // 00000000303C: BED00080
	s_mov_b32 s81, s64                                         // 000000003040: BED10040
	s_mul_i32 s60, s3, 4                                       // 000000003044: 923C8403
	s_add_u32 s46, s60, s46                                    // 000000003048: 802E2E3C
	s_addc_u32 s47, 0, s47                                     // 00000000304C: 822F2F80
	s_load_dword s77, s[46:47], 0x0                            // 000000003050: C0021357 00000000
	s_mul_i32 s60, s3, 32                                      // 000000003058: 923CA003
	s_add_u32 s60, s5, s60                                     // 00000000305C: 803C3C05
	s_mul_i32 s60, 4, s60                                      // 000000003060: 923C3C84
	s_add_u32 s44, s60, s44                                    // 000000003064: 802C2C3C
	s_addc_u32 s45, 0, s45                                     // 000000003068: 822D2D80
	s_load_dword s86, s[44:45], 0x0                            // 00000000306C: C0021596 00000000
	s_load_dword s87, s[44:45], 0x10                           // 000000003074: C00215D6 00000010
	s_load_dword s88, s[44:45], 0x20                           // 00000000307C: C0021616 00000020
	s_load_dword s89, s[44:45], 0x30                           // 000000003084: C0021656 00000030
	s_load_dword s90, s[44:45], 0x40                           // 00000000308C: C0021696 00000040
	s_load_dword s91, s[44:45], 0x50                           // 000000003094: C00216D6 00000050
	s_load_dword s92, s[44:45], 0x60                           // 00000000309C: C0021716 00000060
	s_load_dword s93, s[44:45], 0x70                           // 0000000030A4: C0021756 00000070
	s_waitcnt lgkmcnt(0)                                       // 0000000030AC: BF8CC07F
	v_lshlrev_b32_e32 v44, 2, v0                               // 0000000030B0: 24580082
	s_and_b32 s86, s86, 0xffffff                               // 0000000030B4: 8656FF56 00FFFFFF
	s_mul_i32 s60, s86, s68                                    // 0000000030BC: 923C4456
	v_add_u32_e64 v28, v44, s60                                // 0000000030C0: D134001C 0000792C
	s_and_b32 s87, s87, 0xffffff                               // 0000000030C8: 8657FF57 00FFFFFF
	s_mul_i32 s60, s87, s68                                    // 0000000030D0: 923C4457
	v_add_u32_e64 v29, v44, s60                                // 0000000030D4: D134001D 0000792C
	s_and_b32 s88, s88, 0xffffff                               // 0000000030DC: 8658FF58 00FFFFFF
	s_mul_i32 s60, s88, s68                                    // 0000000030E4: 923C4458
	v_add_u32_e64 v30, v44, s60                                // 0000000030E8: D134001E 0000792C
	s_and_b32 s89, s89, 0xffffff                               // 0000000030F0: 8659FF59 00FFFFFF
	s_mul_i32 s60, s89, s68                                    // 0000000030F8: 923C4459
	v_add_u32_e64 v31, v44, s60                                // 0000000030FC: D134001F 0000792C
	s_and_b32 s90, s90, 0xffffff                               // 000000003104: 865AFF5A 00FFFFFF
	s_mul_i32 s60, s90, s68                                    // 00000000310C: 923C445A
	v_add_u32_e64 v32, v44, s60                                // 000000003110: D1340020 0000792C
	s_and_b32 s91, s91, 0xffffff                               // 000000003118: 865BFF5B 00FFFFFF
	s_mul_i32 s60, s91, s68                                    // 000000003120: 923C445B
	v_add_u32_e64 v33, v44, s60                                // 000000003124: D1340021 0000792C
	s_and_b32 s92, s92, 0xffffff                               // 00000000312C: 865CFF5C 00FFFFFF
	s_mul_i32 s60, s92, s68                                    // 000000003134: 923C445C
	v_add_u32_e64 v34, v44, s60                                // 000000003138: D1340022 0000792C
	s_and_b32 s93, s93, 0xffffff                               // 000000003140: 865DFF5D 00FFFFFF
	s_mul_i32 s60, s93, s68                                    // 000000003148: 923C445D
	v_add_u32_e64 v35, v44, s60                                // 00000000314C: D1340023 0000792C
	s_mul_i32 s60, s5, 0x208                                   // 000000003154: 923CFF05 00000208
	s_add_u32 s50, 0x4800, s60                                 // 00000000315C: 80323CFF 00004800
	s_add_u32 s51, 0x4100, s50                                 // 000000003164: 803332FF 00004100
	v_lshrrev_b32_e32 v44, 4, v0                               // 00000000316C: 20580084
	v_lshlrev_b32_e32 v45, 1, v44                              // 000000003170: 245A5881
	v_and_b32_e32 v44, 15, v0                                  // 000000003174: 2658008F
	v_mul_i32_i24_e32 v44, 0x82, v44                           // 000000003178: 0C5858FF 00000082
	v_add_u32_e32 v45, v44, v45                                // 000000003180: 685A5B2C
	v_lshlrev_b32_e32 v2, 2, v45                               // 000000003184: 24045A82
	s_mul_i32 s60, s5, 32                                      // 000000003188: 923CA005
	v_add_u32_e32 v2, s60, v2                                  // 00000000318C: 6804043C
	v_lshlrev_b32_e32 v44, 3, v0                               // 000000003190: 24580083
	s_mul_i32 s60, 0x200, s5                                   // 000000003194: 923C05FF 00000200
	v_add_u32_e32 v3, s60, v44                                 // 00000000319C: 6806583C
	v_and_b32_e32 v44, 15, v0                                  // 0000000031A0: 2658008F
	v_lshlrev_b32_e32 v4, 3, v44                               // 0000000031A4: 24085883
	v_lshrrev_b32_e32 v44, 5, v0                               // 0000000031A8: 20580085
	v_lshlrev_b32_e32 v45, 5, v44                              // 0000000031AC: 245A5885
	v_and_b32_e32 v44, 31, v0                                  // 0000000031B0: 2658009F
	v_lshrrev_b32_e32 v46, 4, v44                              // 0000000031B4: 205C5884
	v_add_u32_e32 v45, v46, v45                                // 0000000031B8: 685A5B2E
	v_and_b32_e32 v44, 15, v0                                  // 0000000031BC: 2658008F
	v_lshlrev_b32_e32 v44, 1, v44                              // 0000000031C0: 24585881
	v_add_u32_e32 v45, v44, v45                                // 0000000031C4: 685A5B2C
	v_lshlrev_b32_e32 v44, 2, v45                              // 0000000031C8: 24585A82
	s_mul_i32 s60, 0x100, s5                                   // 0000000031CC: 923C05FF 00000100
	v_add_u32_e64 v12, v44, s60                                // 0000000031D4: D134000C 0000792C
	v_lshrrev_b32_e32 v44, 4, v0                               // 0000000031DC: 20580084
	v_lshlrev_b32_e32 v45, 6, v44                              // 0000000031E0: 245A5886
	v_and_b32_e32 v44, 15, v0                                  // 0000000031E4: 2658008F
	v_lshlrev_b32_e32 v44, 1, v44                              // 0000000031E8: 24585881
	v_add_u32_e32 v45, v44, v45                                // 0000000031EC: 685A5B2C
	v_lshlrev_b32_e32 v13, 2, v45                              // 0000000031F0: 241A5A82
	s_mul_i32 s60, s2, 0x200                                   // 0000000031F4: 923CFF02 00000200
	s_mul_i32 s60, s60, s69                                    // 0000000031FC: 923C453C
	s_mul_i32 s61, s77, s72                                    // 000000003200: 923D484D
	s_add_u32 s60, s61, s60                                    // 000000003204: 803C3C3D
	s_add_u32 s24, s60, s24                                    // 000000003208: 8018183C
	s_addc_u32 s25, 0, s25                                     // 00000000320C: 82191980
	s_mul_i32 s60, s5, 16                                      // 000000003210: 923C9005
	s_mul_i32 s60, s60, s69                                    // 000000003214: 923C453C
	v_lshlrev_b32_e32 v36, 4, v0                               // 000000003218: 24480084
	v_add_u32_e32 v36, s60, v36                                // 00000000321C: 6848483C
	s_mul_i32 s60, 64, s69                                     // 000000003220: 923C45C0
	v_add_u32_e32 v37, s60, v36                                // 000000003224: 684A483C
	v_add_u32_e32 v38, s60, v37                                // 000000003228: 684C4A3C
	v_add_u32_e32 v39, s60, v38                                // 00000000322C: 684E4C3C
	v_add_u32_e32 v40, s60, v39                                // 000000003230: 68504E3C
	v_add_u32_e32 v41, s60, v40                                // 000000003234: 6852503C
	v_add_u32_e32 v42, s60, v41                                // 000000003238: 6854523C
	v_add_u32_e32 v43, s60, v42                                // 00000000323C: 6856543C
	s_mul_i32 s60, s2, 0x2000                                  // 000000003240: 923CFF02 00002000
	s_mul_i32 s61, s77, s73                                    // 000000003248: 923D494D
	s_add_u32 s60, s61, s60                                    // 00000000324C: 803C3C3D
	s_add_u32 s12, s60, s12                                    // 000000003250: 800C0C3C
	s_addc_u32 s13, 0, s13                                     // 000000003254: 820D0D80
	s_mul_i32 s60, s3, 32                                      // 000000003258: 923CA003
	s_mul_i32 s60, 4, s60                                      // 00000000325C: 923C3C84
	s_add_u32 s40, s60, s40                                    // 000000003260: 8028283C
	s_addc_u32 s41, 0, s41                                     // 000000003264: 82292980
	v_and_b32_e32 v44, 15, v0                                  // 000000003268: 2658008F
	v_lshlrev_b32_e32 v8, 2, v44                               // 00000000326C: 24105882
	v_add_u32_e32 v9, 64, v8                                   // 000000003270: 681210C0
	v_lshrrev_b32_e32 v44, 4, v0                               // 000000003274: 20580084
	v_lshlrev_b32_e32 v45, 2, v44                              // 000000003278: 245A5882
	v_and_b32_e32 v44, 15, v0                                  // 00000000327C: 2658008F
	v_lshrrev_b32_e32 v46, 2, v44                              // 000000003280: 205C5882
	v_lshlrev_b32_e32 v46, 6, v46                              // 000000003284: 245C5C86
	v_add_u32_e32 v45, v46, v45                                // 000000003288: 685A5B2E
	v_and_b32_e32 v44, 3, v0                                   // 00000000328C: 26580083
	v_add_u32_e32 v45, v44, v45                                // 000000003290: 685A5B2C
	v_lshlrev_b32_e32 v10, 2, v45                              // 000000003294: 24145A82
	v_add_u32_e32 v11, 0x400, v10                              // 000000003298: 681614FF 00000400
	s_mul_i32 s60, s5, 16                                      // 0000000032A0: 923C9005
	s_mul_i32 s60, s60, 4                                      // 0000000032A4: 923C843C
	v_add_u32_e32 v10, s60, v10                                // 0000000032A8: 6814143C
	v_add_u32_e32 v11, s60, v11                                // 0000000032AC: 6816163C
	v_mov_b32_e32 v5, v10                                      // 0000000032B0: 7E0A030A
	v_mov_b32_e32 v6, v10                                      // 0000000032B4: 7E0C030A
	s_mul_i32 s60, s2, 0x200                                   // 0000000032B8: 923CFF02 00000200
	s_mul_i32 s60, s60, 4                                      // 0000000032C0: 923C843C
	s_mul_i32 s61, s77, s74                                    // 0000000032C4: 923D4A4D
	s_add_u32 s61, s61, s60                                    // 0000000032C8: 803D3C3D
	s_mul_i32 s62, s77, s76                                    // 0000000032CC: 923E4C4D
	s_add_u32 s62, s62, s60                                    // 0000000032D0: 803E3C3E
	s_add_u32 s32, s61, s32                                    // 0000000032D4: 8020203D
	s_addc_u32 s33, 0, s33                                     // 0000000032D8: 82212180
	s_add_u32 s36, s62, s36                                    // 0000000032DC: 8024243E
	s_addc_u32 s37, 0, s37                                     // 0000000032E0: 82252580
	s_mul_i32 s60, s77, s75                                    // 0000000032E4: 923C4B4D
	s_add_u32 s16, s60, s16                                    // 0000000032E8: 8010103C
	s_addc_u32 s17, 0, s17                                     // 0000000032EC: 82111180
	s_add_u32 s28, s60, s28                                    // 0000000032F0: 801C1C3C
	s_addc_u32 s29, 0, s29                                     // 0000000032F4: 821D1D80
	s_mov_b32 s57, 0x200                                       // 0000000032F8: BEB900FF 00000200
	s_mov_b32 s58, 0x1000                                      // 000000003300: BEBA00FF 00001000
	s_mov_b32 s79, 0x400                                       // 000000003308: BECF00FF 00000400
	s_mov_b32 s84, 0x400                                       // 000000003310: BED400FF 00000400
	s_mov_b32 s59, 0                                           // 000000003318: BEBB0080
	s_mul_i32 s60, s70, 0x100                                  // 00000000331C: 923CFF46 00000100
	s_sub_u32 s56, s60, 0x1000                                 // 000000003324: 80B8FF3C 00001000
	s_mov_b32 s78, 0x1000                                      // 00000000332C: BECE00FF 00001000
	s_mov_b32 s52, 0x7060302                                   // 000000003334: BEB400FF 07060302
	s_mov_b32 s53, 0x400                                       // 00000000333C: BEB500FF 00000400
	s_mov_b32 s54, 0x40100                                     // 000000003344: BEB600FF 00040100
	s_mov_b32 s55, 0x4020100                                   // 00000000334C: BEB700FF 04020100
	s_mov_b32 s6, 0x3fb8aa3b                                   // 000000003354: BE8600FF 3FB8AA3B
	s_mov_b32 s7, 0x3fb8aa3b                                   // 00000000335C: BE8700FF 3FB8AA3B
	s_mov_b32 s82, 0xbd92220c                                  // 000000003364: BED200FF BD92220C
	s_mov_b32 s83, 0xbd92220c                                  // 00000000336C: BED300FF BD92220C
	s_mov_b32 m0, s50                                          // 000000003374: BEFC0032
	buffer_load_dword v16, v10, s[32:35], 0 offen              // 000000003378: E0501000 8008100A
	buffer_load_dword v17, v11, s[32:35], 0 offen              // 000000003380: E0501000 8008110B
	buffer_load_dword v18, v10, s[36:39], 0 offen              // 000000003388: E0501000 8009120A
	buffer_load_dword v19, v11, s[36:39], 0 offen              // 000000003390: E0501000 8009130B
	buffer_load_dword v20, v8, s[40:43], 0 offen               // 000000003398: E0501000 800A1408
	buffer_load_dword v21, v9, s[40:43], 0 offen               // 0000000033A0: E0501000 800A1509
	buffer_load_dword v14, v6, s[28:31], 0 offen               // 0000000033A8: E0501000 80070E06
	s_add_u32 s28, s84, s28                                    // 0000000033B0: 801C1C54
	s_addc_u32 s29, 0, s29                                     // 0000000033B4: 821D1D80
	buffer_load_dword v15, v6, s[28:31], 0 offen               // 0000000033B8: E0501000 80070F06
	s_add_u32 s28, s84, s28                                    // 0000000033C0: 801C1C54
	s_addc_u32 s29, 0, s29                                     // 0000000033C4: 821D1D80
	buffer_load_dword v28, s[20:23], 0 offen lds               // 0000000033C8: E0511000 8005001C
	buffer_load_dword v28, s[20:23], 0 offen offset:256 lds    // 0000000033D0: E0511100 8005001C
	s_add_u32 m0, 0x820, s50                                   // 0000000033D8: 807C32FF 00000820
	buffer_load_dword v29, s[20:23], 0 offen lds               // 0000000033E0: E0511000 8005001D
	buffer_load_dword v29, s[20:23], 0 offen offset:256 lds    // 0000000033E8: E0511100 8005001D
	s_add_u32 m0, 0x1040, s50                                  // 0000000033F0: 807C32FF 00001040
	buffer_load_dword v30, s[20:23], 0 offen lds               // 0000000033F8: E0511000 8005001E
	buffer_load_dword v30, s[20:23], 0 offen offset:256 lds    // 000000003400: E0511100 8005001E
	s_add_u32 m0, 0x1860, s50                                  // 000000003408: 807C32FF 00001860
	buffer_load_dword v31, s[20:23], 0 offen lds               // 000000003410: E0511000 8005001F
	buffer_load_dword v31, s[20:23], 0 offen offset:256 lds    // 000000003418: E0511100 8005001F
	s_add_u32 m0, 0x2080, s50                                  // 000000003420: 807C32FF 00002080
	buffer_load_dword v32, s[20:23], 0 offen lds               // 000000003428: E0511000 80050020
	buffer_load_dword v32, s[20:23], 0 offen offset:256 lds    // 000000003430: E0511100 80050020
	s_add_u32 m0, 0x28a0, s50                                  // 000000003438: 807C32FF 000028A0
	buffer_load_dword v33, s[20:23], 0 offen lds               // 000000003440: E0511000 80050021
	buffer_load_dword v33, s[20:23], 0 offen offset:256 lds    // 000000003448: E0511100 80050021
	s_add_u32 m0, 0x30c0, s50                                  // 000000003450: 807C32FF 000030C0
	buffer_load_dword v34, s[20:23], 0 offen lds               // 000000003458: E0511000 80050022
	buffer_load_dword v34, s[20:23], 0 offen offset:256 lds    // 000000003460: E0511100 80050022
	s_add_u32 m0, 0x38e0, s50                                  // 000000003468: 807C32FF 000038E0
	buffer_load_dword v35, s[20:23], 0 offen lds               // 000000003470: E0511000 80050023
	buffer_load_dword v35, s[20:23], 0 offen offset:256 lds    // 000000003478: E0511100 80050023
	s_add_u32 m0, 0, s51                                       // 000000003480: 807C3380
	s_add_u32 s20, s57, s20                                    // 000000003484: 80141439
	s_addc_u32 s21, 0, s21                                     // 000000003488: 82151580
	buffer_load_dword v28, s[20:23], 0 offen lds               // 00000000348C: E0511000 8005001C
	buffer_load_dword v28, s[20:23], 0 offen offset:256 lds    // 000000003494: E0511100 8005001C
	s_add_u32 m0, 0x820, s51                                   // 00000000349C: 807C33FF 00000820
	buffer_load_dword v29, s[20:23], 0 offen lds               // 0000000034A4: E0511000 8005001D
	buffer_load_dword v29, s[20:23], 0 offen offset:256 lds    // 0000000034AC: E0511100 8005001D
	s_add_u32 m0, 0x1040, s51                                  // 0000000034B4: 807C33FF 00001040
	buffer_load_dword v30, s[20:23], 0 offen lds               // 0000000034BC: E0511000 8005001E
	buffer_load_dword v30, s[20:23], 0 offen offset:256 lds    // 0000000034C4: E0511100 8005001E
	s_add_u32 m0, 0x1860, s51                                  // 0000000034CC: 807C33FF 00001860
	buffer_load_dword v31, s[20:23], 0 offen lds               // 0000000034D4: E0511000 8005001F
	buffer_load_dword v31, s[20:23], 0 offen offset:256 lds    // 0000000034DC: E0511100 8005001F
	s_add_u32 m0, 0x2080, s51                                  // 0000000034E4: 807C33FF 00002080
	buffer_load_dword v32, s[20:23], 0 offen lds               // 0000000034EC: E0511000 80050020
	buffer_load_dword v32, s[20:23], 0 offen offset:256 lds    // 0000000034F4: E0511100 80050020
	s_add_u32 m0, 0x28a0, s51                                  // 0000000034FC: 807C33FF 000028A0
	buffer_load_dword v33, s[20:23], 0 offen lds               // 000000003504: E0511000 80050021
	buffer_load_dword v33, s[20:23], 0 offen offset:256 lds    // 00000000350C: E0511100 80050021
	s_add_u32 m0, 0x30c0, s51                                  // 000000003514: 807C33FF 000030C0
	buffer_load_dword v34, s[20:23], 0 offen lds               // 00000000351C: E0511000 80050022
	buffer_load_dword v34, s[20:23], 0 offen offset:256 lds    // 000000003524: E0511100 80050022
	s_add_u32 m0, 0x38e0, s51                                  // 00000000352C: 807C33FF 000038E0
	buffer_load_dword v35, s[20:23], 0 offen lds               // 000000003534: E0511000 80050023
	buffer_load_dword v35, s[20:23], 0 offen offset:256 lds    // 00000000353C: E0511100 80050023
	s_add_u32 m0, 0, s50                                       // 000000003544: 807C3280
	s_add_u32 s20, s57, s20                                    // 000000003548: 80141439
	s_addc_u32 s21, 0, s21                                     // 00000000354C: 82151580
	s_waitcnt vmcnt(16)                                        // 000000003550: BF8C4F70
	s_barrier                                                  // 000000003554: BF8A0000
	ds_read_b64 v[192:193], v2 offset:18432                    // 000000003558: D8EC4800 C0000002
	ds_read_b64 v[196:197], v2 offset:26752                    // 000000003560: D8EC6880 C4000002
	ds_read_b64 v[200:201], v2 offset:18560                    // 000000003568: D8EC4880 C8000002
	ds_read_b64 v[204:205], v2 offset:26880                    // 000000003570: D8EC6900 CC000002
	ds_read_b64 v[208:209], v2 offset:18688                    // 000000003578: D8EC4900 D0000002
	ds_read_b64 v[212:213], v2 offset:27008                    // 000000003580: D8EC6980 D4000002
	ds_read_b64 v[216:217], v2 offset:18816                    // 000000003588: D8EC4980 D8000002
	ds_read_b64 v[220:221], v2 offset:27136                    // 000000003590: D8EC6A00 DC000002
	s_waitcnt lgkmcnt(0)                                       // 000000003598: BF8CC07F
	buffer_load_dwordx4 a[0:3], v36, s[24:27], 0 offen         // 00000000359C: E05C1000 80860024
	buffer_load_dwordx4 a[4:7], v36, s[24:27], 0 offen offset:1024// 0000000035A4: E05C1400 80860424
	buffer_load_dwordx4 a[8:11], v36, s[24:27], 0 offen offset:2048// 0000000035AC: E05C1800 80860824
	buffer_load_dwordx4 a[12:15], v36, s[24:27], 0 offen offset:3072// 0000000035B4: E05C1C00 80860C24
	buffer_load_dwordx4 a[16:19], v37, s[24:27], 0 offen       // 0000000035BC: E05C1000 80861025
	buffer_load_dwordx4 a[20:23], v37, s[24:27], 0 offen offset:1024// 0000000035C4: E05C1400 80861425
	buffer_load_dwordx4 a[24:27], v37, s[24:27], 0 offen offset:2048// 0000000035CC: E05C1800 80861825
	buffer_load_dwordx4 a[28:31], v37, s[24:27], 0 offen offset:3072// 0000000035D4: E05C1C00 80861C25
	buffer_load_dwordx4 a[32:35], v38, s[24:27], 0 offen       // 0000000035DC: E05C1000 80862026
	buffer_load_dwordx4 a[36:39], v38, s[24:27], 0 offen offset:1024// 0000000035E4: E05C1400 80862426
	buffer_load_dwordx4 a[40:43], v38, s[24:27], 0 offen offset:2048// 0000000035EC: E05C1800 80862826
	buffer_load_dwordx4 a[44:47], v38, s[24:27], 0 offen offset:3072// 0000000035F4: E05C1C00 80862C26
	buffer_load_dwordx4 a[48:51], v39, s[24:27], 0 offen       // 0000000035FC: E05C1000 80863027
	buffer_load_dwordx4 a[52:55], v39, s[24:27], 0 offen offset:1024// 000000003604: E05C1400 80863427
	buffer_load_dwordx4 a[56:59], v39, s[24:27], 0 offen offset:2048// 00000000360C: E05C1800 80863827
	buffer_load_dwordx4 a[60:63], v39, s[24:27], 0 offen offset:3072// 000000003614: E05C1C00 80863C27
	buffer_load_dwordx4 a[64:67], v40, s[24:27], 0 offen       // 00000000361C: E05C1000 80864028
	buffer_load_dwordx4 a[68:71], v40, s[24:27], 0 offen offset:1024// 000000003624: E05C1400 80864428
	buffer_load_dwordx4 a[72:75], v40, s[24:27], 0 offen offset:2048// 00000000362C: E05C1800 80864828
	buffer_load_dwordx4 a[76:79], v40, s[24:27], 0 offen offset:3072// 000000003634: E05C1C00 80864C28
	buffer_load_dwordx4 a[80:83], v41, s[24:27], 0 offen       // 00000000363C: E05C1000 80865029
	buffer_load_dwordx4 a[84:87], v41, s[24:27], 0 offen offset:1024// 000000003644: E05C1400 80865429
	buffer_load_dwordx4 a[88:91], v41, s[24:27], 0 offen offset:2048// 00000000364C: E05C1800 80865829
	buffer_load_dwordx4 a[92:95], v41, s[24:27], 0 offen offset:3072// 000000003654: E05C1C00 80865C29
	buffer_load_dwordx4 a[96:99], v42, s[24:27], 0 offen       // 00000000365C: E05C1000 8086602A
	buffer_load_dwordx4 a[100:103], v42, s[24:27], 0 offen offset:1024// 000000003664: E05C1400 8086642A
	buffer_load_dwordx4 a[104:107], v42, s[24:27], 0 offen offset:2048// 00000000366C: E05C1800 8086682A
	buffer_load_dwordx4 a[108:111], v42, s[24:27], 0 offen offset:3072// 000000003674: E05C1C00 80866C2A
	buffer_load_dwordx4 a[112:115], v43, s[24:27], 0 offen     // 00000000367C: E05C1000 8086702B
	buffer_load_dwordx4 a[116:119], v43, s[24:27], 0 offen offset:1024// 000000003684: E05C1400 8086742B
	buffer_load_dwordx4 a[120:123], v43, s[24:27], 0 offen offset:2048// 00000000368C: E05C1800 8086782B
	buffer_load_dwordx4 a[124:127], v43, s[24:27], 0 offen offset:3072// 000000003694: E05C1C00 80867C2B
	s_add_u32 s24, s58, s24                                    // 00000000369C: 8018183A
	s_addc_u32 s25, 0, s25                                     // 0000000036A0: 82191980
	v_and_b32_e32 v195, 0xffff0000, v193                       // 0000000036A4: 278782FF FFFF0000
	v_lshlrev_b32_e32 v194, 16, v193                           // 0000000036AC: 25858290
	v_and_b32_e32 v193, 0xffff0000, v192                       // 0000000036B0: 278380FF FFFF0000
	v_lshlrev_b32_e32 v192, 16, v192                           // 0000000036B8: 25818090
	v_and_b32_e32 v199, 0xffff0000, v197                       // 0000000036BC: 278F8AFF FFFF0000
	v_lshlrev_b32_e32 v198, 16, v197                           // 0000000036C4: 258D8A90
	v_and_b32_e32 v197, 0xffff0000, v196                       // 0000000036C8: 278B88FF FFFF0000
	v_lshlrev_b32_e32 v196, 16, v196                           // 0000000036D0: 25898890
	v_and_b32_e32 v203, 0xffff0000, v201                       // 0000000036D4: 279792FF FFFF0000
	v_lshlrev_b32_e32 v202, 16, v201                           // 0000000036DC: 25959290
	v_and_b32_e32 v201, 0xffff0000, v200                       // 0000000036E0: 279390FF FFFF0000
	v_lshlrev_b32_e32 v200, 16, v200                           // 0000000036E8: 25919090
	v_and_b32_e32 v207, 0xffff0000, v205                       // 0000000036EC: 279F9AFF FFFF0000
	v_lshlrev_b32_e32 v206, 16, v205                           // 0000000036F4: 259D9A90
	v_and_b32_e32 v205, 0xffff0000, v204                       // 0000000036F8: 279B98FF FFFF0000
	v_lshlrev_b32_e32 v204, 16, v204                           // 000000003700: 25999890
	v_mul_f32_dpp v192, v14, v192 row_newbcast:0 row_mask:0xf bank_mask:0xf// 000000003704: 0B8180FA FF01500E
	v_mul_f32_dpp v193, v14, v193 row_newbcast:1 row_mask:0xf bank_mask:0xf// 00000000370C: 0B8382FA FF01510E
	v_mul_f32_dpp v194, v14, v194 row_newbcast:2 row_mask:0xf bank_mask:0xf// 000000003714: 0B8584FA FF01520E
	v_mul_f32_dpp v195, v14, v195 row_newbcast:3 row_mask:0xf bank_mask:0xf// 00000000371C: 0B8786FA FF01530E
	v_mul_f32_dpp v196, v14, v196 row_newbcast:0 row_mask:0xf bank_mask:0xf// 000000003724: 0B8988FA FF01500E
	v_mul_f32_dpp v197, v14, v197 row_newbcast:1 row_mask:0xf bank_mask:0xf// 00000000372C: 0B8B8AFA FF01510E
	v_mul_f32_dpp v198, v14, v198 row_newbcast:2 row_mask:0xf bank_mask:0xf// 000000003734: 0B8D8CFA FF01520E
	v_mul_f32_dpp v199, v14, v199 row_newbcast:3 row_mask:0xf bank_mask:0xf// 00000000373C: 0B8F8EFA FF01530E
	v_mul_f32_dpp v200, v14, v200 row_newbcast:4 row_mask:0xf bank_mask:0xf// 000000003744: 0B9190FA FF01540E
	v_mul_f32_dpp v201, v14, v201 row_newbcast:5 row_mask:0xf bank_mask:0xf// 00000000374C: 0B9392FA FF01550E
	v_mul_f32_dpp v202, v14, v202 row_newbcast:6 row_mask:0xf bank_mask:0xf// 000000003754: 0B9594FA FF01560E
	v_mul_f32_dpp v203, v14, v203 row_newbcast:7 row_mask:0xf bank_mask:0xf// 00000000375C: 0B9796FA FF01570E
	v_mul_f32_dpp v204, v14, v204 row_newbcast:4 row_mask:0xf bank_mask:0xf// 000000003764: 0B9998FA FF01540E
	v_mul_f32_dpp v205, v14, v205 row_newbcast:5 row_mask:0xf bank_mask:0xf// 00000000376C: 0B9B9AFA FF01550E
	v_mul_f32_dpp v206, v14, v206 row_newbcast:6 row_mask:0xf bank_mask:0xf// 000000003774: 0B9D9CFA FF01560E
	v_mul_f32_dpp v207, v14, v207 row_newbcast:7 row_mask:0xf bank_mask:0xf// 00000000377C: 0B9F9EFA FF01570E
	v_and_b32_e32 v211, 0xffff0000, v209                       // 000000003784: 27A7A2FF FFFF0000
	v_lshlrev_b32_e32 v210, 16, v209                           // 00000000378C: 25A5A290
	v_and_b32_e32 v209, 0xffff0000, v208                       // 000000003790: 27A3A0FF FFFF0000
	v_lshlrev_b32_e32 v208, 16, v208                           // 000000003798: 25A1A090
	v_and_b32_e32 v215, 0xffff0000, v213                       // 00000000379C: 27AFAAFF FFFF0000
	v_lshlrev_b32_e32 v214, 16, v213                           // 0000000037A4: 25ADAA90
	v_and_b32_e32 v213, 0xffff0000, v212                       // 0000000037A8: 27ABA8FF FFFF0000
	v_lshlrev_b32_e32 v212, 16, v212                           // 0000000037B0: 25A9A890
	v_and_b32_e32 v219, 0xffff0000, v217                       // 0000000037B4: 27B7B2FF FFFF0000
	v_lshlrev_b32_e32 v218, 16, v217                           // 0000000037BC: 25B5B290
	v_and_b32_e32 v217, 0xffff0000, v216                       // 0000000037C0: 27B3B0FF FFFF0000
	v_lshlrev_b32_e32 v216, 16, v216                           // 0000000037C8: 25B1B090
	v_and_b32_e32 v223, 0xffff0000, v221                       // 0000000037CC: 27BFBAFF FFFF0000
	v_lshlrev_b32_e32 v222, 16, v221                           // 0000000037D4: 25BDBA90
	v_and_b32_e32 v221, 0xffff0000, v220                       // 0000000037D8: 27BBB8FF FFFF0000
	v_lshlrev_b32_e32 v220, 16, v220                           // 0000000037E0: 25B9B890
	v_mul_f32_dpp v208, v14, v208 row_newbcast:8 row_mask:0xf bank_mask:0xf// 0000000037E4: 0BA1A0FA FF01580E
	v_mul_f32_dpp v209, v14, v209 row_newbcast:9 row_mask:0xf bank_mask:0xf// 0000000037EC: 0BA3A2FA FF01590E
	v_mul_f32_dpp v210, v14, v210 row_newbcast:10 row_mask:0xf bank_mask:0xf// 0000000037F4: 0BA5A4FA FF015A0E
	v_mul_f32_dpp v211, v14, v211 row_newbcast:11 row_mask:0xf bank_mask:0xf// 0000000037FC: 0BA7A6FA FF015B0E
	v_mul_f32_dpp v212, v14, v212 row_newbcast:8 row_mask:0xf bank_mask:0xf// 000000003804: 0BA9A8FA FF01580E
	v_mul_f32_dpp v213, v14, v213 row_newbcast:9 row_mask:0xf bank_mask:0xf// 00000000380C: 0BABAAFA FF01590E
	v_mul_f32_dpp v214, v14, v214 row_newbcast:10 row_mask:0xf bank_mask:0xf// 000000003814: 0BADACFA FF015A0E
	v_mul_f32_dpp v215, v14, v215 row_newbcast:11 row_mask:0xf bank_mask:0xf// 00000000381C: 0BAFAEFA FF015B0E
	v_mul_f32_dpp v216, v14, v216 row_newbcast:12 row_mask:0xf bank_mask:0xf// 000000003824: 0BB1B0FA FF015C0E
	v_mul_f32_dpp v217, v14, v217 row_newbcast:13 row_mask:0xf bank_mask:0xf// 00000000382C: 0BB3B2FA FF015D0E
	v_mul_f32_dpp v218, v14, v218 row_newbcast:14 row_mask:0xf bank_mask:0xf// 000000003834: 0BB5B4FA FF015E0E
	v_mul_f32_dpp v219, v14, v219 row_newbcast:15 row_mask:0xf bank_mask:0xf// 00000000383C: 0BB7B6FA FF015F0E
	v_mul_f32_dpp v220, v14, v220 row_newbcast:12 row_mask:0xf bank_mask:0xf// 000000003844: 0BB9B8FA FF015C0E
	v_mul_f32_dpp v221, v14, v221 row_newbcast:13 row_mask:0xf bank_mask:0xf// 00000000384C: 0BBBBAFA FF015D0E
	v_mul_f32_dpp v222, v14, v222 row_newbcast:14 row_mask:0xf bank_mask:0xf// 000000003854: 0BBDBCFA FF015E0E
	v_mul_f32_dpp v223, v14, v223 row_newbcast:15 row_mask:0xf bank_mask:0xf// 00000000385C: 0BBFBEFA FF015F0E
	v_mov_b32_e32 v48, 0x358637bd                              // 000000003864: 7E6002FF 358637BD
	v_mov_b32_e32 v49, 0x358637bd                              // 00000000386C: 7E6202FF 358637BD
	v_max3_f32 v48, |v192|, |v193|, v48                        // 000000003874: D1D30330 04C383C0
	v_max3_f32 v48, |v194|, |v195|, v48                        // 00000000387C: D1D30330 04C387C2
	v_max3_f32 v49, |v196|, |v197|, v49                        // 000000003884: D1D30331 04C78BC4
	v_max3_f32 v49, |v198|, |v199|, v49                        // 00000000388C: D1D30331 04C78FC6
	v_max3_f32 v48, |v200|, |v201|, v48                        // 000000003894: D1D30330 04C393C8
	v_max3_f32 v48, |v202|, |v203|, v48                        // 00000000389C: D1D30330 04C397CA
	v_max3_f32 v49, |v204|, |v205|, v49                        // 0000000038A4: D1D30331 04C79BCC
	v_max3_f32 v49, |v206|, |v207|, v49                        // 0000000038AC: D1D30331 04C79FCE
	v_max3_f32 v48, |v208|, |v209|, v48                        // 0000000038B4: D1D30330 04C3A3D0
	v_max3_f32 v48, |v210|, |v211|, v48                        // 0000000038BC: D1D30330 04C3A7D2
	v_max3_f32 v49, |v212|, |v213|, v49                        // 0000000038C4: D1D30331 04C7ABD4
	v_max3_f32 v49, |v214|, |v215|, v49                        // 0000000038CC: D1D30331 04C7AFD6
	v_max3_f32 v48, |v216|, |v217|, v48                        // 0000000038D4: D1D30330 04C3B3D8
	v_max3_f32 v48, |v218|, |v219|, v48                        // 0000000038DC: D1D30330 04C3B7DA
	v_max3_f32 v49, |v220|, |v221|, v49                        // 0000000038E4: D1D30331 04C7BBDC
	v_max3_f32 v49, |v222|, |v223|, v49                        // 0000000038EC: D1D30331 04C7BFDE
	ds_write_b64 v3, v[48:49]                                  // 0000000038F4: D89A0000 00003003
	s_waitcnt lgkmcnt(0)                                       // 0000000038FC: BF8CC07F
	s_barrier                                                  // 000000003900: BF8A0000
	ds_read_b64 v[48:49], v4                                   // 000000003904: D8EC0000 30000004
	ds_read_b64 v[50:51], v4 offset:128                        // 00000000390C: D8EC0080 32000004
	ds_read_b64 v[52:53], v4 offset:256                        // 000000003914: D8EC0100 34000004
	ds_read_b64 v[54:55], v4 offset:384                        // 00000000391C: D8EC0180 36000004
	ds_read_b64 v[56:57], v4 offset:512                        // 000000003924: D8EC0200 38000004
	ds_read_b64 v[58:59], v4 offset:640                        // 00000000392C: D8EC0280 3A000004
	ds_read_b64 v[60:61], v4 offset:768                        // 000000003934: D8EC0300 3C000004
	ds_read_b64 v[62:63], v4 offset:896                        // 00000000393C: D8EC0380 3E000004
	s_waitcnt lgkmcnt(0)                                       // 000000003944: BF8CC07F
	v_mov_b32_e32 v22, 0x358637bd                              // 000000003948: 7E2C02FF 358637BD
	v_mov_b32_e32 v23, 0x358637bd                              // 000000003950: 7E2E02FF 358637BD
	v_max3_f32 v22, |v48|, |v50|, v22                          // 000000003958: D1D30316 045A6530
	v_max3_f32 v23, |v49|, |v51|, v23                          // 000000003960: D1D30317 045E6731
	v_max3_f32 v22, |v52|, |v54|, v22                          // 000000003968: D1D30316 045A6D34
	v_max3_f32 v23, |v53|, |v55|, v23                          // 000000003970: D1D30317 045E6F35
	v_max3_f32 v22, |v56|, |v58|, v22                          // 000000003978: D1D30316 045A7538
	v_max3_f32 v23, |v57|, |v59|, v23                          // 000000003980: D1D30317 045E7739
	v_max3_f32 v22, |v60|, |v62|, v22                          // 000000003988: D1D30316 045A7D3C
	v_max3_f32 v23, |v61|, |v63|, v23                          // 000000003990: D1D30317 045E7F3D
	ds_read_b64 v[48:49], v4 offset:1024                       // 000000003998: D8EC0400 30000004
	ds_read_b64 v[50:51], v4 offset:1152                       // 0000000039A0: D8EC0480 32000004
	ds_read_b64 v[52:53], v4 offset:1280                       // 0000000039A8: D8EC0500 34000004
	ds_read_b64 v[54:55], v4 offset:1408                       // 0000000039B0: D8EC0580 36000004
	ds_read_b64 v[56:57], v4 offset:1536                       // 0000000039B8: D8EC0600 38000004
	ds_read_b64 v[58:59], v4 offset:1664                       // 0000000039C0: D8EC0680 3A000004
	ds_read_b64 v[60:61], v4 offset:1792                       // 0000000039C8: D8EC0700 3C000004
	ds_read_b64 v[62:63], v4 offset:1920                       // 0000000039D0: D8EC0780 3E000004
	s_waitcnt lgkmcnt(0)                                       // 0000000039D8: BF8CC07F
	v_max3_f32 v22, |v48|, |v50|, v22                          // 0000000039DC: D1D30316 045A6530
	v_max3_f32 v23, |v49|, |v51|, v23                          // 0000000039E4: D1D30317 045E6731
	v_max3_f32 v22, |v52|, |v54|, v22                          // 0000000039EC: D1D30316 045A6D34
	v_max3_f32 v23, |v53|, |v55|, v23                          // 0000000039F4: D1D30317 045E6F35
	v_max3_f32 v22, |v56|, |v58|, v22                          // 0000000039FC: D1D30316 045A7538
	v_max3_f32 v23, |v57|, |v59|, v23                          // 000000003A04: D1D30317 045E7739
	v_max3_f32 v22, |v60|, |v62|, v22                          // 000000003A0C: D1D30316 045A7D3C
	v_max3_f32 v23, |v61|, |v63|, v23                          // 000000003A14: D1D30317 045E7F3D
	v_rcp_f32_e32 v22, v22                                     // 000000003A1C: 7E2C4516
	v_rcp_f32_e32 v23, v23                                     // 000000003A20: 7E2E4517
	s_nop 1                                                    // 000000003A24: BF800001
	v_mul_f32_e32 v22, 0x42fe0000, v22                         // 000000003A28: 0A2C2CFF 42FE0000
	v_mul_f32_e32 v23, 0x42fe0000, v23                         // 000000003A30: 0A2E2EFF 42FE0000
	v_rcp_f32_e32 v24, v22                                     // 000000003A38: 7E304516
	v_rcp_f32_e32 v25, v23                                     // 000000003A3C: 7E324517
	v_mul_f32_e32 v192, v22, v192                              // 000000003A40: 0B818116
	v_mul_f32_e32 v193, v22, v193                              // 000000003A44: 0B838316
	v_mul_f32_e32 v194, v22, v194                              // 000000003A48: 0B858516
	v_mul_f32_e32 v195, v22, v195                              // 000000003A4C: 0B878716
	v_cvt_i32_f32_e32 v192, v192                               // 000000003A50: 7F8011C0
	v_cvt_i32_f32_e32 v193, v193                               // 000000003A54: 7F8211C1
	v_cvt_i32_f32_e32 v194, v194                               // 000000003A58: 7F8411C2
	v_cvt_i32_f32_e32 v195, v195                               // 000000003A5C: 7F8611C3
	v_perm_b32 v192, v193, v192, s53                           // 000000003A60: D1ED00C0 00D781C1
	v_perm_b32 v192, v194, v192, s54                           // 000000003A68: D1ED00C0 00DB81C2
	v_perm_b32 v192, v195, v192, s55                           // 000000003A70: D1ED00C0 00DF81C3
	v_mul_f32_e32 v196, v23, v196                              // 000000003A78: 0B898917
	v_mul_f32_e32 v197, v23, v197                              // 000000003A7C: 0B8B8B17
	v_mul_f32_e32 v198, v23, v198                              // 000000003A80: 0B8D8D17
	v_mul_f32_e32 v199, v23, v199                              // 000000003A84: 0B8F8F17
	v_cvt_i32_f32_e32 v196, v196                               // 000000003A88: 7F8811C4
	v_cvt_i32_f32_e32 v197, v197                               // 000000003A8C: 7F8A11C5
	v_cvt_i32_f32_e32 v198, v198                               // 000000003A90: 7F8C11C6
	v_cvt_i32_f32_e32 v199, v199                               // 000000003A94: 7F8E11C7
	v_perm_b32 v193, v197, v196, s53                           // 000000003A98: D1ED00C1 00D789C5
	v_perm_b32 v193, v198, v193, s54                           // 000000003AA0: D1ED00C1 00DB83C6
	v_perm_b32 v193, v199, v193, s55                           // 000000003AA8: D1ED00C1 00DF83C7
	v_mul_f32_e32 v200, v22, v200                              // 000000003AB0: 0B919116
	v_mul_f32_e32 v201, v22, v201                              // 000000003AB4: 0B939316
	v_mul_f32_e32 v202, v22, v202                              // 000000003AB8: 0B959516
	v_mul_f32_e32 v203, v22, v203                              // 000000003ABC: 0B979716
	v_cvt_i32_f32_e32 v200, v200                               // 000000003AC0: 7F9011C8
	v_cvt_i32_f32_e32 v201, v201                               // 000000003AC4: 7F9211C9
	v_cvt_i32_f32_e32 v202, v202                               // 000000003AC8: 7F9411CA
	v_cvt_i32_f32_e32 v203, v203                               // 000000003ACC: 7F9611CB
	v_perm_b32 v194, v201, v200, s53                           // 000000003AD0: D1ED00C2 00D791C9
	v_perm_b32 v194, v202, v194, s54                           // 000000003AD8: D1ED00C2 00DB85CA
	v_perm_b32 v194, v203, v194, s55                           // 000000003AE0: D1ED00C2 00DF85CB
	v_mul_f32_e32 v204, v23, v204                              // 000000003AE8: 0B999917
	v_mul_f32_e32 v205, v23, v205                              // 000000003AEC: 0B9B9B17
	v_mul_f32_e32 v206, v23, v206                              // 000000003AF0: 0B9D9D17
	v_mul_f32_e32 v207, v23, v207                              // 000000003AF4: 0B9F9F17
	v_cvt_i32_f32_e32 v204, v204                               // 000000003AF8: 7F9811CC
	v_cvt_i32_f32_e32 v205, v205                               // 000000003AFC: 7F9A11CD
	v_cvt_i32_f32_e32 v206, v206                               // 000000003B00: 7F9C11CE
	v_cvt_i32_f32_e32 v207, v207                               // 000000003B04: 7F9E11CF
	v_perm_b32 v195, v205, v204, s53                           // 000000003B08: D1ED00C3 00D799CD
	v_perm_b32 v195, v206, v195, s54                           // 000000003B10: D1ED00C3 00DB87CE
	v_perm_b32 v195, v207, v195, s55                           // 000000003B18: D1ED00C3 00DF87CF
	v_mul_f32_e32 v208, v22, v208                              // 000000003B20: 0BA1A116
	v_mul_f32_e32 v209, v22, v209                              // 000000003B24: 0BA3A316
	v_mul_f32_e32 v210, v22, v210                              // 000000003B28: 0BA5A516
	v_mul_f32_e32 v211, v22, v211                              // 000000003B2C: 0BA7A716
	v_cvt_i32_f32_e32 v208, v208                               // 000000003B30: 7FA011D0
	v_cvt_i32_f32_e32 v209, v209                               // 000000003B34: 7FA211D1
	v_cvt_i32_f32_e32 v210, v210                               // 000000003B38: 7FA411D2
	v_cvt_i32_f32_e32 v211, v211                               // 000000003B3C: 7FA611D3
	v_perm_b32 v196, v209, v208, s53                           // 000000003B40: D1ED00C4 00D7A1D1
	v_perm_b32 v196, v210, v196, s54                           // 000000003B48: D1ED00C4 00DB89D2
	v_perm_b32 v196, v211, v196, s55                           // 000000003B50: D1ED00C4 00DF89D3
	v_mul_f32_e32 v212, v23, v212                              // 000000003B58: 0BA9A917
	v_mul_f32_e32 v213, v23, v213                              // 000000003B5C: 0BABAB17
	v_mul_f32_e32 v214, v23, v214                              // 000000003B60: 0BADAD17
	v_mul_f32_e32 v215, v23, v215                              // 000000003B64: 0BAFAF17
	v_cvt_i32_f32_e32 v212, v212                               // 000000003B68: 7FA811D4
	v_cvt_i32_f32_e32 v213, v213                               // 000000003B6C: 7FAA11D5
	v_cvt_i32_f32_e32 v214, v214                               // 000000003B70: 7FAC11D6
	v_cvt_i32_f32_e32 v215, v215                               // 000000003B74: 7FAE11D7
	v_perm_b32 v197, v213, v212, s53                           // 000000003B78: D1ED00C5 00D7A9D5
	v_perm_b32 v197, v214, v197, s54                           // 000000003B80: D1ED00C5 00DB8BD6
	v_perm_b32 v197, v215, v197, s55                           // 000000003B88: D1ED00C5 00DF8BD7
	v_mul_f32_e32 v216, v22, v216                              // 000000003B90: 0BB1B116
	v_mul_f32_e32 v217, v22, v217                              // 000000003B94: 0BB3B316
	v_mul_f32_e32 v218, v22, v218                              // 000000003B98: 0BB5B516
	v_mul_f32_e32 v219, v22, v219                              // 000000003B9C: 0BB7B716
	v_cvt_i32_f32_e32 v216, v216                               // 000000003BA0: 7FB011D8
	v_cvt_i32_f32_e32 v217, v217                               // 000000003BA4: 7FB211D9
	v_cvt_i32_f32_e32 v218, v218                               // 000000003BA8: 7FB411DA
	v_cvt_i32_f32_e32 v219, v219                               // 000000003BAC: 7FB611DB
	v_perm_b32 v198, v217, v216, s53                           // 000000003BB0: D1ED00C6 00D7B1D9
	v_perm_b32 v198, v218, v198, s54                           // 000000003BB8: D1ED00C6 00DB8DDA
	v_perm_b32 v198, v219, v198, s55                           // 000000003BC0: D1ED00C6 00DF8DDB
	v_mul_f32_e32 v220, v23, v220                              // 000000003BC8: 0BB9B917
	v_mul_f32_e32 v221, v23, v221                              // 000000003BCC: 0BBBBB17
	v_mul_f32_e32 v222, v23, v222                              // 000000003BD0: 0BBDBD17
	v_mul_f32_e32 v223, v23, v223                              // 000000003BD4: 0BBFBF17
	v_cvt_i32_f32_e32 v220, v220                               // 000000003BD8: 7FB811DC
	v_cvt_i32_f32_e32 v221, v221                               // 000000003BDC: 7FBA11DD
	v_cvt_i32_f32_e32 v222, v222                               // 000000003BE0: 7FBC11DE
	v_cvt_i32_f32_e32 v223, v223                               // 000000003BE4: 7FBE11DF
	v_perm_b32 v199, v221, v220, s53                           // 000000003BE8: D1ED00C7 00D7B9DD
	v_perm_b32 v199, v222, v199, s54                           // 000000003BF0: D1ED00C7 00DB8FDE
	v_perm_b32 v199, v223, v199, s55                           // 000000003BF8: D1ED00C7 00DF8FDF
	ds_write_b32 v12, v192 offset:2048                         // 000000003C00: D81A0800 0000C00C
	ds_write_b32 v12, v193 offset:6144                         // 000000003C08: D81A1800 0000C10C
	ds_write_b32 v12, v194 offset:3072                         // 000000003C10: D81A0C00 0000C20C
	ds_write_b32 v12, v195 offset:7168                         // 000000003C18: D81A1C00 0000C30C
	ds_write_b32 v12, v196 offset:4096                         // 000000003C20: D81A1000 0000C40C
	ds_write_b32 v12, v197 offset:8192                         // 000000003C28: D81A2000 0000C50C
	ds_write_b32 v12, v198 offset:5120                         // 000000003C30: D81A1400 0000C60C
	ds_write_b32 v12, v199 offset:9216                         // 000000003C38: D81A2400 0000C70C
	s_waitcnt lgkmcnt(0)                                       // 000000003C40: BF8CC07F
	s_barrier                                                  // 000000003C44: BF8A0000
	ds_read_b64 v[192:193], v13 offset:2048                    // 000000003C48: D8EC0800 C000000D
	ds_read_b64 v[194:195], v13 offset:2176                    // 000000003C50: D8EC0880 C200000D
	ds_read_b64 v[196:197], v13 offset:3072                    // 000000003C58: D8EC0C00 C400000D
	ds_read_b64 v[198:199], v13 offset:3200                    // 000000003C60: D8EC0C80 C600000D
	ds_read_b64 v[200:201], v13 offset:4096                    // 000000003C68: D8EC1000 C800000D
	ds_read_b64 v[202:203], v13 offset:4224                    // 000000003C70: D8EC1080 CA00000D
	ds_read_b64 v[204:205], v13 offset:5120                    // 000000003C78: D8EC1400 CC00000D
	ds_read_b64 v[206:207], v13 offset:5248                    // 000000003C80: D8EC1480 CE00000D
	ds_read_b64 v[208:209], v13 offset:6144                    // 000000003C88: D8EC1800 D000000D
	ds_read_b64 v[210:211], v13 offset:6272                    // 000000003C90: D8EC1880 D200000D
	ds_read_b64 v[212:213], v13 offset:7168                    // 000000003C98: D8EC1C00 D400000D
	ds_read_b64 v[214:215], v13 offset:7296                    // 000000003CA0: D8EC1C80 D600000D
	ds_read_b64 v[216:217], v13 offset:8192                    // 000000003CA8: D8EC2000 D800000D
	ds_read_b64 v[218:219], v13 offset:8320                    // 000000003CB0: D8EC2080 DA00000D
	ds_read_b64 v[220:221], v13 offset:9216                    // 000000003CB8: D8EC2400 DC00000D
	ds_read_b64 v[222:223], v13 offset:9344                    // 000000003CC0: D8EC2480 DE00000D
	v_mov_b32_e32 v64, 0                                       // 000000003CC8: 7E800280
	v_mov_b32_e32 v65, 0                                       // 000000003CCC: 7E820280
	v_mov_b32_e32 v66, 0                                       // 000000003CD0: 7E840280
	v_mov_b32_e32 v67, 0                                       // 000000003CD4: 7E860280
	v_mov_b32_e32 v68, 0                                       // 000000003CD8: 7E880280
	v_mov_b32_e32 v69, 0                                       // 000000003CDC: 7E8A0280
	v_mov_b32_e32 v70, 0                                       // 000000003CE0: 7E8C0280
	v_mov_b32_e32 v71, 0                                       // 000000003CE4: 7E8E0280
	v_mov_b32_e32 v72, 0                                       // 000000003CE8: 7E900280
	v_mov_b32_e32 v73, 0                                       // 000000003CEC: 7E920280
	v_mov_b32_e32 v74, 0                                       // 000000003CF0: 7E940280
	v_mov_b32_e32 v75, 0                                       // 000000003CF4: 7E960280
	v_mov_b32_e32 v76, 0                                       // 000000003CF8: 7E980280
	v_mov_b32_e32 v77, 0                                       // 000000003CFC: 7E9A0280
	v_mov_b32_e32 v78, 0                                       // 000000003D00: 7E9C0280
	v_mov_b32_e32 v79, 0                                       // 000000003D04: 7E9E0280
	v_mov_b32_e32 v80, 0                                       // 000000003D08: 7EA00280
	v_mov_b32_e32 v81, 0                                       // 000000003D0C: 7EA20280
	v_mov_b32_e32 v82, 0                                       // 000000003D10: 7EA40280
	v_mov_b32_e32 v83, 0                                       // 000000003D14: 7EA60280
	v_mov_b32_e32 v84, 0                                       // 000000003D18: 7EA80280
	v_mov_b32_e32 v85, 0                                       // 000000003D1C: 7EAA0280
	v_mov_b32_e32 v86, 0                                       // 000000003D20: 7EAC0280
	v_mov_b32_e32 v87, 0                                       // 000000003D24: 7EAE0280
	v_mov_b32_e32 v88, 0                                       // 000000003D28: 7EB00280
	v_mov_b32_e32 v89, 0                                       // 000000003D2C: 7EB20280
	v_mov_b32_e32 v90, 0                                       // 000000003D30: 7EB40280
	v_mov_b32_e32 v91, 0                                       // 000000003D34: 7EB60280
	v_mov_b32_e32 v92, 0                                       // 000000003D38: 7EB80280
	v_mov_b32_e32 v93, 0                                       // 000000003D3C: 7EBA0280
	v_mov_b32_e32 v94, 0                                       // 000000003D40: 7EBC0280
	v_mov_b32_e32 v95, 0                                       // 000000003D44: 7EBE0280
	v_mov_b32_e32 v96, 0                                       // 000000003D48: 7EC00280
	v_mov_b32_e32 v97, 0                                       // 000000003D4C: 7EC20280
	v_mov_b32_e32 v98, 0                                       // 000000003D50: 7EC40280
	v_mov_b32_e32 v99, 0                                       // 000000003D54: 7EC60280
	v_mov_b32_e32 v100, 0                                      // 000000003D58: 7EC80280
	v_mov_b32_e32 v101, 0                                      // 000000003D5C: 7ECA0280
	v_mov_b32_e32 v102, 0                                      // 000000003D60: 7ECC0280
	v_mov_b32_e32 v103, 0                                      // 000000003D64: 7ECE0280
	v_mov_b32_e32 v104, 0                                      // 000000003D68: 7ED00280
	v_mov_b32_e32 v105, 0                                      // 000000003D6C: 7ED20280
	v_mov_b32_e32 v106, 0                                      // 000000003D70: 7ED40280
	v_mov_b32_e32 v107, 0                                      // 000000003D74: 7ED60280
	v_mov_b32_e32 v108, 0                                      // 000000003D78: 7ED80280
	v_mov_b32_e32 v109, 0                                      // 000000003D7C: 7EDA0280
	v_mov_b32_e32 v110, 0                                      // 000000003D80: 7EDC0280
	v_mov_b32_e32 v111, 0                                      // 000000003D84: 7EDE0280
	v_mov_b32_e32 v112, 0                                      // 000000003D88: 7EE00280
	v_mov_b32_e32 v113, 0                                      // 000000003D8C: 7EE20280
	v_mov_b32_e32 v114, 0                                      // 000000003D90: 7EE40280
	v_mov_b32_e32 v115, 0                                      // 000000003D94: 7EE60280
	v_mov_b32_e32 v116, 0                                      // 000000003D98: 7EE80280
	v_mov_b32_e32 v117, 0                                      // 000000003D9C: 7EEA0280
	v_mov_b32_e32 v118, 0                                      // 000000003DA0: 7EEC0280
	v_mov_b32_e32 v119, 0                                      // 000000003DA4: 7EEE0280
	v_mov_b32_e32 v120, 0                                      // 000000003DA8: 7EF00280
	v_mov_b32_e32 v121, 0                                      // 000000003DAC: 7EF20280
	v_mov_b32_e32 v122, 0                                      // 000000003DB0: 7EF40280
	v_mov_b32_e32 v123, 0                                      // 000000003DB4: 7EF60280
	v_mov_b32_e32 v124, 0                                      // 000000003DB8: 7EF80280
	v_mov_b32_e32 v125, 0                                      // 000000003DBC: 7EFA0280
	v_mov_b32_e32 v126, 0                                      // 000000003DC0: 7EFC0280
	v_mov_b32_e32 v127, 0                                      // 000000003DC4: 7EFE0280
	s_waitcnt vmcnt(16)                                        // 000000003DC8: BF8C4F70
	s_cmp_lt_i32 s5, 2                                         // 000000003DCC: BF048205
	s_cbranch_scc0 label_1670                                  // 000000003DD0: BF84127B

0000000000003dd4 <label_03F5>:
	s_waitcnt vmcnt(24) lgkmcnt(0)                             // 000000003DD4: BF8C4078
	s_barrier                                                  // 000000003DD8: BF8A0000
	v_mfma_i32_16x16x32_i8 v[128:131], a[0:1], v[192:193], 0   // 000000003DDC: D3D70080 0A038100
	ds_read_b64 v[224:225], v2 offset:35072                    // 000000003DE4: D8EC8900 E0000002
	ds_read_b64 v[228:229], v2 offset:43392                    // 000000003DEC: D8ECA980 E4000002
	v_mfma_i32_16x16x32_i8 v[128:131], a[2:3], v[194:195], v[128:131]// 000000003DF4: D3D70080 0E038502
	buffer_load_dwordx4 a[128:131], v36, s[24:27], 0 offen     // 000000003DFC: E05C1000 80868024
	v_mfma_i32_16x16x32_i8 v[128:131], a[4:5], v[196:197], v[128:131]// 000000003E04: D3D70080 0E038904
	ds_read_b64 v[232:233], v2 offset:35200                    // 000000003E0C: D8EC8980 E8000002
	ds_read_b64 v[236:237], v2 offset:43520                    // 000000003E14: D8ECAA00 EC000002
	v_mfma_i32_16x16x32_i8 v[128:131], a[6:7], v[198:199], v[128:131]// 000000003E1C: D3D70080 0E038D06
	buffer_load_dword v28, s[20:23], 0 offen lds               // 000000003E24: E0511000 8005001C
	buffer_load_dword v28, s[20:23], 0 offen offset:256 lds    // 000000003E2C: E0511100 8005001C
	s_add_u32 m0, 0x820, s50                                   // 000000003E34: 807C32FF 00000820
	buffer_load_dword v14, v6, s[28:31], 0 offen               // 000000003E3C: E0501000 80070E06
	v_mfma_i32_16x16x32_i8 v[128:131], a[8:9], v[200:201], v[128:131]// 000000003E44: D3D70080 0E039108
	ds_read_b64 v[240:241], v2 offset:35328                    // 000000003E4C: D8EC8A00 F0000002
	ds_read_b64 v[244:245], v2 offset:43648                    // 000000003E54: D8ECAA80 F4000002
	v_mfma_i32_16x16x32_i8 v[128:131], a[10:11], v[202:203], v[128:131]// 000000003E5C: D3D70080 0E03950A
	buffer_load_dwordx4 a[132:135], v36, s[24:27], 0 offen offset:1024// 000000003E64: E05C1400 80868424
	v_mfma_i32_16x16x32_i8 v[128:131], a[12:13], v[204:205], v[128:131]// 000000003E6C: D3D70080 0E03990C
	ds_read_b64 v[248:249], v2 offset:35456                    // 000000003E74: D8EC8A80 F8000002
	ds_read_b64 v[252:253], v2 offset:43776                    // 000000003E7C: D8ECAB00 FC000002
	v_mfma_i32_16x16x32_i8 v[128:131], a[14:15], v[206:207], v[128:131]// 000000003E84: D3D70080 0E039D0E
	buffer_load_dword v29, s[20:23], 0 offen lds               // 000000003E8C: E0511000 8005001D
	buffer_load_dword v29, s[20:23], 0 offen offset:256 lds    // 000000003E94: E0511100 8005001D
	s_add_u32 m0, 0x1040, s50                                  // 000000003E9C: 807C32FF 00001040
	s_waitcnt lgkmcnt(4)                                       // 000000003EA4: BF8CC47F
	v_and_b32_e32 v227, 0xffff0000, v225                       // 000000003EA8: 27C7C2FF FFFF0000
	v_lshlrev_b32_e32 v226, 16, v225                           // 000000003EB0: 25C5C290
	v_and_b32_e32 v225, 0xffff0000, v224                       // 000000003EB4: 27C3C0FF FFFF0000
	v_lshlrev_b32_e32 v224, 16, v224                           // 000000003EBC: 25C1C090
	v_and_b32_e32 v231, 0xffff0000, v229                       // 000000003EC0: 27CFCAFF FFFF0000
	v_lshlrev_b32_e32 v230, 16, v229                           // 000000003EC8: 25CDCA90
	v_and_b32_e32 v229, 0xffff0000, v228                       // 000000003ECC: 27CBC8FF FFFF0000
	v_lshlrev_b32_e32 v228, 16, v228                           // 000000003ED4: 25C9C890
	v_and_b32_e32 v235, 0xffff0000, v233                       // 000000003ED8: 27D7D2FF FFFF0000
	v_lshlrev_b32_e32 v234, 16, v233                           // 000000003EE0: 25D5D290
	v_and_b32_e32 v233, 0xffff0000, v232                       // 000000003EE4: 27D3D0FF FFFF0000
	v_lshlrev_b32_e32 v232, 16, v232                           // 000000003EEC: 25D1D090
	v_and_b32_e32 v239, 0xffff0000, v237                       // 000000003EF0: 27DFDAFF FFFF0000
	v_lshlrev_b32_e32 v238, 16, v237                           // 000000003EF8: 25DDDA90
	v_and_b32_e32 v237, 0xffff0000, v236                       // 000000003EFC: 27DBD8FF FFFF0000
	v_lshlrev_b32_e32 v236, 16, v236                           // 000000003F04: 25D9D890
	v_mul_f32_dpp v224, v15, v224 row_newbcast:0 row_mask:0xf bank_mask:0xf// 000000003F08: 0BC1C0FA FF01500F
	v_mul_f32_dpp v225, v15, v225 row_newbcast:1 row_mask:0xf bank_mask:0xf// 000000003F10: 0BC3C2FA FF01510F
	v_mul_f32_dpp v226, v15, v226 row_newbcast:2 row_mask:0xf bank_mask:0xf// 000000003F18: 0BC5C4FA FF01520F
	v_mul_f32_dpp v227, v15, v227 row_newbcast:3 row_mask:0xf bank_mask:0xf// 000000003F20: 0BC7C6FA FF01530F
	v_mul_f32_dpp v228, v15, v228 row_newbcast:0 row_mask:0xf bank_mask:0xf// 000000003F28: 0BC9C8FA FF01500F
	v_mul_f32_dpp v229, v15, v229 row_newbcast:1 row_mask:0xf bank_mask:0xf// 000000003F30: 0BCBCAFA FF01510F
	v_mul_f32_dpp v230, v15, v230 row_newbcast:2 row_mask:0xf bank_mask:0xf// 000000003F38: 0BCDCCFA FF01520F
	v_mul_f32_dpp v231, v15, v231 row_newbcast:3 row_mask:0xf bank_mask:0xf// 000000003F40: 0BCFCEFA FF01530F
	v_mul_f32_dpp v232, v15, v232 row_newbcast:4 row_mask:0xf bank_mask:0xf// 000000003F48: 0BD1D0FA FF01540F
	v_mul_f32_dpp v233, v15, v233 row_newbcast:5 row_mask:0xf bank_mask:0xf// 000000003F50: 0BD3D2FA FF01550F
	v_mul_f32_dpp v234, v15, v234 row_newbcast:6 row_mask:0xf bank_mask:0xf// 000000003F58: 0BD5D4FA FF01560F
	v_mul_f32_dpp v235, v15, v235 row_newbcast:7 row_mask:0xf bank_mask:0xf// 000000003F60: 0BD7D6FA FF01570F
	v_mul_f32_dpp v236, v15, v236 row_newbcast:4 row_mask:0xf bank_mask:0xf// 000000003F68: 0BD9D8FA FF01540F
	v_mul_f32_dpp v237, v15, v237 row_newbcast:5 row_mask:0xf bank_mask:0xf// 000000003F70: 0BDBDAFA FF01550F
	v_mul_f32_dpp v238, v15, v238 row_newbcast:6 row_mask:0xf bank_mask:0xf// 000000003F78: 0BDDDCFA FF01560F
	v_mul_f32_dpp v239, v15, v239 row_newbcast:7 row_mask:0xf bank_mask:0xf// 000000003F80: 0BDFDEFA FF01570F
	v_mfma_i32_16x16x32_i8 v[132:135], a[0:1], v[208:209], 0   // 000000003F88: D3D70084 0A03A100
	v_mfma_i32_16x16x32_i8 v[132:135], a[2:3], v[210:211], v[132:135]// 000000003F90: D3D70084 0E13A502
	buffer_load_dwordx4 a[136:139], v36, s[24:27], 0 offen offset:2048// 000000003F98: E05C1800 80868824
	v_mfma_i32_16x16x32_i8 v[132:135], a[4:5], v[212:213], v[132:135]// 000000003FA0: D3D70084 0E13A904
	v_mfma_i32_16x16x32_i8 v[132:135], a[6:7], v[214:215], v[132:135]// 000000003FA8: D3D70084 0E13AD06
	buffer_load_dword v30, s[20:23], 0 offen lds               // 000000003FB0: E0511000 8005001E
	buffer_load_dword v30, s[20:23], 0 offen offset:256 lds    // 000000003FB8: E0511100 8005001E
	s_add_u32 m0, 0x1860, s50                                  // 000000003FC0: 807C32FF 00001860
	v_mfma_i32_16x16x32_i8 v[132:135], a[8:9], v[216:217], v[132:135]// 000000003FC8: D3D70084 0E13B108
	v_mfma_i32_16x16x32_i8 v[132:135], a[10:11], v[218:219], v[132:135]// 000000003FD0: D3D70084 0E13B50A
	buffer_load_dwordx4 a[140:143], v36, s[24:27], 0 offen offset:3072// 000000003FD8: E05C1C00 80868C24
	v_mfma_i32_16x16x32_i8 v[132:135], a[12:13], v[220:221], v[132:135]// 000000003FE0: D3D70084 0E13B90C
	v_mfma_i32_16x16x32_i8 v[132:135], a[14:15], v[222:223], v[132:135]// 000000003FE8: D3D70084 0E13BD0E
	buffer_load_dword v31, s[20:23], 0 offen lds               // 000000003FF0: E0511000 8005001F
	buffer_load_dword v31, s[20:23], 0 offen offset:256 lds    // 000000003FF8: E0511100 8005001F
	s_add_u32 m0, 0x2080, s50                                  // 000000004000: 807C32FF 00002080
	s_waitcnt lgkmcnt(0)                                       // 000000004008: BF8CC07F
	v_and_b32_e32 v243, 0xffff0000, v241                       // 00000000400C: 27E7E2FF FFFF0000
	v_lshlrev_b32_e32 v242, 16, v241                           // 000000004014: 25E5E290
	v_and_b32_e32 v241, 0xffff0000, v240                       // 000000004018: 27E3E0FF FFFF0000
	v_lshlrev_b32_e32 v240, 16, v240                           // 000000004020: 25E1E090
	v_and_b32_e32 v247, 0xffff0000, v245                       // 000000004024: 27EFEAFF FFFF0000
	v_lshlrev_b32_e32 v246, 16, v245                           // 00000000402C: 25EDEA90
	v_and_b32_e32 v245, 0xffff0000, v244                       // 000000004030: 27EBE8FF FFFF0000
	v_lshlrev_b32_e32 v244, 16, v244                           // 000000004038: 25E9E890
	v_and_b32_e32 v251, 0xffff0000, v249                       // 00000000403C: 27F7F2FF FFFF0000
	v_lshlrev_b32_e32 v250, 16, v249                           // 000000004044: 25F5F290
	v_and_b32_e32 v249, 0xffff0000, v248                       // 000000004048: 27F3F0FF FFFF0000
	v_lshlrev_b32_e32 v248, 16, v248                           // 000000004050: 25F1F090
	v_and_b32_e32 v255, 0xffff0000, v253                       // 000000004054: 27FFFAFF FFFF0000
	v_lshlrev_b32_e32 v254, 16, v253                           // 00000000405C: 25FDFA90
	v_and_b32_e32 v253, 0xffff0000, v252                       // 000000004060: 27FBF8FF FFFF0000
	v_lshlrev_b32_e32 v252, 16, v252                           // 000000004068: 25F9F890
	v_mul_f32_dpp v240, v15, v240 row_newbcast:8 row_mask:0xf bank_mask:0xf// 00000000406C: 0BE1E0FA FF01580F
	v_mul_f32_dpp v241, v15, v241 row_newbcast:9 row_mask:0xf bank_mask:0xf// 000000004074: 0BE3E2FA FF01590F
	v_mul_f32_dpp v242, v15, v242 row_newbcast:10 row_mask:0xf bank_mask:0xf// 00000000407C: 0BE5E4FA FF015A0F
	v_mul_f32_dpp v243, v15, v243 row_newbcast:11 row_mask:0xf bank_mask:0xf// 000000004084: 0BE7E6FA FF015B0F
	v_mul_f32_dpp v244, v15, v244 row_newbcast:8 row_mask:0xf bank_mask:0xf// 00000000408C: 0BE9E8FA FF01580F
	v_mul_f32_dpp v245, v15, v245 row_newbcast:9 row_mask:0xf bank_mask:0xf// 000000004094: 0BEBEAFA FF01590F
	v_mul_f32_dpp v246, v15, v246 row_newbcast:10 row_mask:0xf bank_mask:0xf// 00000000409C: 0BEDECFA FF015A0F
	v_mul_f32_dpp v247, v15, v247 row_newbcast:11 row_mask:0xf bank_mask:0xf// 0000000040A4: 0BEFEEFA FF015B0F
	v_mul_f32_dpp v248, v15, v248 row_newbcast:12 row_mask:0xf bank_mask:0xf// 0000000040AC: 0BF1F0FA FF015C0F
	v_mul_f32_dpp v249, v15, v249 row_newbcast:13 row_mask:0xf bank_mask:0xf// 0000000040B4: 0BF3F2FA FF015D0F
	v_mul_f32_dpp v250, v15, v250 row_newbcast:14 row_mask:0xf bank_mask:0xf// 0000000040BC: 0BF5F4FA FF015E0F
	v_mul_f32_dpp v251, v15, v251 row_newbcast:15 row_mask:0xf bank_mask:0xf// 0000000040C4: 0BF7F6FA FF015F0F
	v_mul_f32_dpp v252, v15, v252 row_newbcast:12 row_mask:0xf bank_mask:0xf// 0000000040CC: 0BF9F8FA FF015C0F
	v_mul_f32_dpp v253, v15, v253 row_newbcast:13 row_mask:0xf bank_mask:0xf// 0000000040D4: 0BFBFAFA FF015D0F
	v_mul_f32_dpp v254, v15, v254 row_newbcast:14 row_mask:0xf bank_mask:0xf// 0000000040DC: 0BFDFCFA FF015E0F
	v_mul_f32_dpp v255, v15, v255 row_newbcast:15 row_mask:0xf bank_mask:0xf// 0000000040E4: 0BFFFEFA FF015F0F
	v_mfma_i32_16x16x32_i8 v[136:139], a[16:17], v[192:193], 0 // 0000000040EC: D3D70088 0A038110
	v_mfma_i32_16x16x32_i8 v[136:139], a[18:19], v[194:195], v[136:139]// 0000000040F4: D3D70088 0E238512
	buffer_load_dwordx4 a[144:147], v37, s[24:27], 0 offen     // 0000000040FC: E05C1000 80869025
	v_mfma_i32_16x16x32_i8 v[136:139], a[20:21], v[196:197], v[136:139]// 000000004104: D3D70088 0E238914
	v_mfma_i32_16x16x32_i8 v[136:139], a[22:23], v[198:199], v[136:139]// 00000000410C: D3D70088 0E238D16
	buffer_load_dword v32, s[20:23], 0 offen lds               // 000000004114: E0511000 80050020
	buffer_load_dword v32, s[20:23], 0 offen offset:256 lds    // 00000000411C: E0511100 80050020
	s_add_u32 m0, 0x28a0, s50                                  // 000000004124: 807C32FF 000028A0
	v_mfma_i32_16x16x32_i8 v[136:139], a[24:25], v[200:201], v[136:139]// 00000000412C: D3D70088 0E239118
	v_mfma_i32_16x16x32_i8 v[136:139], a[26:27], v[202:203], v[136:139]// 000000004134: D3D70088 0E23951A
	buffer_load_dwordx4 a[148:151], v37, s[24:27], 0 offen offset:1024// 00000000413C: E05C1400 80869425
	v_mfma_i32_16x16x32_i8 v[136:139], a[28:29], v[204:205], v[136:139]// 000000004144: D3D70088 0E23991C
	v_mfma_i32_16x16x32_i8 v[136:139], a[30:31], v[206:207], v[136:139]// 00000000414C: D3D70088 0E239D1E
	buffer_load_dword v33, s[20:23], 0 offen lds               // 000000004154: E0511000 80050021
	buffer_load_dword v33, s[20:23], 0 offen offset:256 lds    // 00000000415C: E0511100 80050021
	s_add_u32 m0, 0x30c0, s50                                  // 000000004164: 807C32FF 000030C0
	v_mov_b32_e32 v48, 0x358637bd                              // 00000000416C: 7E6002FF 358637BD
	v_mov_b32_e32 v49, 0x358637bd                              // 000000004174: 7E6202FF 358637BD
	v_max3_f32 v48, |v224|, |v225|, v48                        // 00000000417C: D1D30330 04C3C3E0
	v_max3_f32 v48, |v226|, |v227|, v48                        // 000000004184: D1D30330 04C3C7E2
	v_max3_f32 v49, |v228|, |v229|, v49                        // 00000000418C: D1D30331 04C7CBE4
	v_max3_f32 v49, |v230|, |v231|, v49                        // 000000004194: D1D30331 04C7CFE6
	v_max3_f32 v48, |v232|, |v233|, v48                        // 00000000419C: D1D30330 04C3D3E8
	v_max3_f32 v48, |v234|, |v235|, v48                        // 0000000041A4: D1D30330 04C3D7EA
	v_max3_f32 v49, |v236|, |v237|, v49                        // 0000000041AC: D1D30331 04C7DBEC
	v_max3_f32 v49, |v238|, |v239|, v49                        // 0000000041B4: D1D30331 04C7DFEE
	v_max3_f32 v48, |v240|, |v241|, v48                        // 0000000041BC: D1D30330 04C3E3F0
	v_max3_f32 v48, |v242|, |v243|, v48                        // 0000000041C4: D1D30330 04C3E7F2
	v_max3_f32 v49, |v244|, |v245|, v49                        // 0000000041CC: D1D30331 04C7EBF4
	v_max3_f32 v49, |v246|, |v247|, v49                        // 0000000041D4: D1D30331 04C7EFF6
	v_max3_f32 v48, |v248|, |v249|, v48                        // 0000000041DC: D1D30330 04C3F3F8
	v_max3_f32 v48, |v250|, |v251|, v48                        // 0000000041E4: D1D30330 04C3F7FA
	v_max3_f32 v49, |v252|, |v253|, v49                        // 0000000041EC: D1D30331 04C7FBFC
	v_max3_f32 v49, |v254|, |v255|, v49                        // 0000000041F4: D1D30331 04C7FFFE
	v_mfma_i32_16x16x32_i8 v[140:143], a[16:17], v[208:209], 0 // 0000000041FC: D3D7008C 0A03A110
	ds_write_b64 v3, v[48:49]                                  // 000000004204: D89A0000 00003003
	v_mfma_i32_16x16x32_i8 v[140:143], a[18:19], v[210:211], v[140:143]// 00000000420C: D3D7008C 0E33A512
	buffer_load_dwordx4 a[152:155], v37, s[24:27], 0 offen offset:2048// 000000004214: E05C1800 80869825
	v_mfma_i32_16x16x32_i8 v[140:143], a[20:21], v[212:213], v[140:143]// 00000000421C: D3D7008C 0E33A914
	v_mfma_i32_16x16x32_i8 v[140:143], a[22:23], v[214:215], v[140:143]// 000000004224: D3D7008C 0E33AD16
	buffer_load_dword v34, s[20:23], 0 offen lds               // 00000000422C: E0511000 80050022
	buffer_load_dword v34, s[20:23], 0 offen offset:256 lds    // 000000004234: E0511100 80050022
	s_add_u32 m0, 0x38e0, s50                                  // 00000000423C: 807C32FF 000038E0
	v_mfma_i32_16x16x32_i8 v[140:143], a[24:25], v[216:217], v[140:143]// 000000004244: D3D7008C 0E33B118
	v_mfma_i32_16x16x32_i8 v[140:143], a[26:27], v[218:219], v[140:143]// 00000000424C: D3D7008C 0E33B51A
	buffer_load_dwordx4 a[156:159], v37, s[24:27], 0 offen offset:3072// 000000004254: E05C1C00 80869C25
	v_mfma_i32_16x16x32_i8 v[140:143], a[28:29], v[220:221], v[140:143]// 00000000425C: D3D7008C 0E33B91C
	v_mfma_i32_16x16x32_i8 v[140:143], a[30:31], v[222:223], v[140:143]// 000000004264: D3D7008C 0E33BD1E
	buffer_load_dword v35, s[20:23], 0 offen lds               // 00000000426C: E0511000 80050023
	buffer_load_dword v35, s[20:23], 0 offen offset:256 lds    // 000000004274: E0511100 80050023
	s_add_u32 m0, 0, s51                                       // 00000000427C: 807C3380
	s_waitcnt lgkmcnt(0)                                       // 000000004280: BF8CC07F
	s_barrier                                                  // 000000004284: BF8A0000
	v_cvt_f32_i32_e32 v128, v128                               // 000000004288: 7F000B80
	v_cvt_f32_i32_e32 v129, v129                               // 00000000428C: 7F020B81
	v_cvt_f32_i32_e32 v130, v130                               // 000000004290: 7F040B82
	v_cvt_f32_i32_e32 v131, v131                               // 000000004294: 7F060B83
	v_cvt_f32_i32_e32 v132, v132                               // 000000004298: 7F080B84
	v_cvt_f32_i32_e32 v133, v133                               // 00000000429C: 7F0A0B85
	v_cvt_f32_i32_e32 v134, v134                               // 0000000042A0: 7F0C0B86
	v_cvt_f32_i32_e32 v135, v135                               // 0000000042A4: 7F0E0B87
	v_cvt_f32_i32_e32 v136, v136                               // 0000000042A8: 7F100B88
	v_cvt_f32_i32_e32 v137, v137                               // 0000000042AC: 7F120B89
	v_cvt_f32_i32_e32 v138, v138                               // 0000000042B0: 7F140B8A
	v_cvt_f32_i32_e32 v139, v139                               // 0000000042B4: 7F160B8B
	v_cvt_f32_i32_e32 v140, v140                               // 0000000042B8: 7F180B8C
	v_cvt_f32_i32_e32 v141, v141                               // 0000000042BC: 7F1A0B8D
	v_cvt_f32_i32_e32 v142, v142                               // 0000000042C0: 7F1C0B8E
	v_cvt_f32_i32_e32 v143, v143                               // 0000000042C4: 7F1E0B8F
	s_waitcnt vmcnt(40)                                        // 0000000042C8: BF8C8F78
	v_mfma_i32_16x16x32_i8 v[144:147], a[32:33], v[192:193], 0 // 0000000042CC: D3D70090 0A038120
	ds_read_b64 v[48:49], v4                                   // 0000000042D4: D8EC0000 30000004
	ds_read_b64 v[50:51], v4 offset:128                        // 0000000042DC: D8EC0080 32000004
	v_mfma_i32_16x16x32_i8 v[144:147], a[34:35], v[194:195], v[144:147]// 0000000042E4: D3D70090 0E438522
	buffer_load_dwordx4 a[160:163], v38, s[24:27], 0 offen     // 0000000042EC: E05C1000 8086A026
	v_mfma_i32_16x16x32_i8 v[144:147], a[36:37], v[196:197], v[144:147]// 0000000042F4: D3D70090 0E438924
	ds_read_b64 v[52:53], v4 offset:256                        // 0000000042FC: D8EC0100 34000004
	ds_read_b64 v[54:55], v4 offset:384                        // 000000004304: D8EC0180 36000004
	v_mfma_i32_16x16x32_i8 v[144:147], a[38:39], v[198:199], v[144:147]// 00000000430C: D3D70090 0E438D26
	v_mfma_i32_16x16x32_i8 v[144:147], a[40:41], v[200:201], v[144:147]// 000000004314: D3D70090 0E439128
	ds_read_b64 v[56:57], v4 offset:512                        // 00000000431C: D8EC0200 38000004
	ds_read_b64 v[58:59], v4 offset:640                        // 000000004324: D8EC0280 3A000004
	v_mfma_i32_16x16x32_i8 v[144:147], a[42:43], v[202:203], v[144:147]// 00000000432C: D3D70090 0E43952A
	buffer_load_dwordx4 a[164:167], v38, s[24:27], 0 offen offset:1024// 000000004334: E05C1400 8086A426
	v_mfma_i32_16x16x32_i8 v[144:147], a[44:45], v[204:205], v[144:147]// 00000000433C: D3D70090 0E43992C
	ds_read_b64 v[60:61], v4 offset:768                        // 000000004344: D8EC0300 3C000004
	ds_read_b64 v[62:63], v4 offset:896                        // 00000000434C: D8EC0380 3E000004
	v_mfma_i32_16x16x32_i8 v[144:147], a[46:47], v[206:207], v[144:147]// 000000004354: D3D70090 0E439D2E
	v_mov_b32_e32 v8, v25                                      // 00000000435C: 7E100319
	v_mov_b32_e32 v9, v25                                      // 000000004360: 7E120319
	v_mov_b32_e32 v25, v24                                     // 000000004364: 7E320318
	v_pk_fma_f32 v[64:65], v[24:25], v[128:129], v[64:65]      // 000000004368: D3B04040 1D030118
	v_pk_fma_f32 v[66:67], v[24:25], v[130:131], v[66:67]      // 000000004370: D3B04042 1D0B0518
	v_pk_fma_f32 v[68:69], v[8:9], v[132:133], v[68:69]        // 000000004378: D3B04044 1D130908
	v_pk_fma_f32 v[70:71], v[8:9], v[134:135], v[70:71]        // 000000004380: D3B04046 1D1B0D08
	v_pk_fma_f32 v[72:73], v[24:25], v[136:137], v[72:73]      // 000000004388: D3B04048 1D231118
	v_pk_fma_f32 v[74:75], v[24:25], v[138:139], v[74:75]      // 000000004390: D3B0404A 1D2B1518
	v_pk_fma_f32 v[76:77], v[8:9], v[140:141], v[76:77]        // 000000004398: D3B0404C 1D331908
	v_pk_fma_f32 v[78:79], v[8:9], v[142:143], v[78:79]        // 0000000043A0: D3B0404E 1D3B1D08
	s_waitcnt lgkmcnt(0)                                       // 0000000043A8: BF8CC07F
	v_mov_b32_e32 v22, 0x358637bd                              // 0000000043AC: 7E2C02FF 358637BD
	v_mov_b32_e32 v23, 0x358637bd                              // 0000000043B4: 7E2E02FF 358637BD
	v_max3_f32 v22, |v48|, |v50|, v22                          // 0000000043BC: D1D30316 045A6530
	v_max3_f32 v23, |v49|, |v51|, v23                          // 0000000043C4: D1D30317 045E6731
	v_max3_f32 v22, |v52|, |v54|, v22                          // 0000000043CC: D1D30316 045A6D34
	v_max3_f32 v23, |v53|, |v55|, v23                          // 0000000043D4: D1D30317 045E6F35
	v_max3_f32 v22, |v56|, |v58|, v22                          // 0000000043DC: D1D30316 045A7538
	v_max3_f32 v23, |v57|, |v59|, v23                          // 0000000043E4: D1D30317 045E7739
	v_max3_f32 v22, |v60|, |v62|, v22                          // 0000000043EC: D1D30316 045A7D3C
	v_max3_f32 v23, |v61|, |v63|, v23                          // 0000000043F4: D1D30317 045E7F3D
	v_mfma_i32_16x16x32_i8 v[148:151], a[32:33], v[208:209], 0 // 0000000043FC: D3D70094 0A03A120
	ds_read_b64 v[48:49], v4 offset:1024                       // 000000004404: D8EC0400 30000004
	ds_read_b64 v[50:51], v4 offset:1152                       // 00000000440C: D8EC0480 32000004
	v_mfma_i32_16x16x32_i8 v[148:151], a[34:35], v[210:211], v[148:151]// 000000004414: D3D70094 0E53A522
	buffer_load_dwordx4 a[168:171], v38, s[24:27], 0 offen offset:2048// 00000000441C: E05C1800 8086A826
	v_mfma_i32_16x16x32_i8 v[148:151], a[36:37], v[212:213], v[148:151]// 000000004424: D3D70094 0E53A924
	ds_read_b64 v[52:53], v4 offset:1280                       // 00000000442C: D8EC0500 34000004
	ds_read_b64 v[54:55], v4 offset:1408                       // 000000004434: D8EC0580 36000004
	v_mfma_i32_16x16x32_i8 v[148:151], a[38:39], v[214:215], v[148:151]// 00000000443C: D3D70094 0E53AD26
	v_mfma_i32_16x16x32_i8 v[148:151], a[40:41], v[216:217], v[148:151]// 000000004444: D3D70094 0E53B128
	ds_read_b64 v[56:57], v4 offset:1536                       // 00000000444C: D8EC0600 38000004
	ds_read_b64 v[58:59], v4 offset:1664                       // 000000004454: D8EC0680 3A000004
	v_mfma_i32_16x16x32_i8 v[148:151], a[42:43], v[218:219], v[148:151]// 00000000445C: D3D70094 0E53B52A
	buffer_load_dwordx4 a[172:175], v38, s[24:27], 0 offen offset:3072// 000000004464: E05C1C00 8086AC26
	v_mfma_i32_16x16x32_i8 v[148:151], a[44:45], v[220:221], v[148:151]// 00000000446C: D3D70094 0E53B92C
	ds_read_b64 v[60:61], v4 offset:1792                       // 000000004474: D8EC0700 3C000004
	ds_read_b64 v[62:63], v4 offset:1920                       // 00000000447C: D8EC0780 3E000004
	v_mfma_i32_16x16x32_i8 v[148:151], a[46:47], v[222:223], v[148:151]// 000000004484: D3D70094 0E53BD2E
	v_mfma_i32_16x16x32_i8 v[152:155], a[48:49], v[192:193], 0 // 00000000448C: D3D70098 0A038130
	v_mfma_i32_16x16x32_i8 v[152:155], a[50:51], v[194:195], v[152:155]// 000000004494: D3D70098 0E638532
	buffer_load_dwordx4 a[176:179], v39, s[24:27], 0 offen     // 00000000449C: E05C1000 8086B027
	v_mfma_i32_16x16x32_i8 v[152:155], a[52:53], v[196:197], v[152:155]// 0000000044A4: D3D70098 0E638934
	v_mfma_i32_16x16x32_i8 v[152:155], a[54:55], v[198:199], v[152:155]// 0000000044AC: D3D70098 0E638D36
	v_mfma_i32_16x16x32_i8 v[152:155], a[56:57], v[200:201], v[152:155]// 0000000044B4: D3D70098 0E639138
	v_mfma_i32_16x16x32_i8 v[152:155], a[58:59], v[202:203], v[152:155]// 0000000044BC: D3D70098 0E63953A
	buffer_load_dwordx4 a[180:183], v39, s[24:27], 0 offen offset:1024// 0000000044C4: E05C1400 8086B427
	v_mfma_i32_16x16x32_i8 v[152:155], a[60:61], v[204:205], v[152:155]// 0000000044CC: D3D70098 0E63993C
	v_mfma_i32_16x16x32_i8 v[152:155], a[62:63], v[206:207], v[152:155]// 0000000044D4: D3D70098 0E639D3E
	s_waitcnt lgkmcnt(0)                                       // 0000000044DC: BF8CC07F
	v_max3_f32 v22, |v48|, |v50|, v22                          // 0000000044E0: D1D30316 045A6530
	v_max3_f32 v23, |v49|, |v51|, v23                          // 0000000044E8: D1D30317 045E6731
	v_max3_f32 v22, |v52|, |v54|, v22                          // 0000000044F0: D1D30316 045A6D34
	v_max3_f32 v23, |v53|, |v55|, v23                          // 0000000044F8: D1D30317 045E6F35
	v_max3_f32 v22, |v56|, |v58|, v22                          // 000000004500: D1D30316 045A7538
	v_max3_f32 v23, |v57|, |v59|, v23                          // 000000004508: D1D30317 045E7739
	v_max3_f32 v22, |v60|, |v62|, v22                          // 000000004510: D1D30316 045A7D3C
	v_max3_f32 v23, |v61|, |v63|, v23                          // 000000004518: D1D30317 045E7F3D
	v_rcp_f32_e32 v22, v22                                     // 000000004520: 7E2C4516
	v_rcp_f32_e32 v23, v23                                     // 000000004524: 7E2E4517
	s_nop 1                                                    // 000000004528: BF800001
	v_mul_f32_e32 v22, 0x42fe0000, v22                         // 00000000452C: 0A2C2CFF 42FE0000
	v_mul_f32_e32 v23, 0x42fe0000, v23                         // 000000004534: 0A2E2EFF 42FE0000
	v_rcp_f32_e32 v26, v22                                     // 00000000453C: 7E344516
	v_rcp_f32_e32 v27, v23                                     // 000000004540: 7E364517
	v_mfma_i32_16x16x32_i8 v[156:159], a[48:49], v[208:209], 0 // 000000004544: D3D7009C 0A03A130
	v_mfma_i32_16x16x32_i8 v[156:159], a[50:51], v[210:211], v[156:159]// 00000000454C: D3D7009C 0E73A532
	buffer_load_dwordx4 a[184:187], v39, s[24:27], 0 offen offset:2048// 000000004554: E05C1800 8086B827
	v_mfma_i32_16x16x32_i8 v[156:159], a[52:53], v[212:213], v[156:159]// 00000000455C: D3D7009C 0E73A934
	v_mfma_i32_16x16x32_i8 v[156:159], a[54:55], v[214:215], v[156:159]// 000000004564: D3D7009C 0E73AD36
	v_mfma_i32_16x16x32_i8 v[156:159], a[56:57], v[216:217], v[156:159]// 00000000456C: D3D7009C 0E73B138
	v_mfma_i32_16x16x32_i8 v[156:159], a[58:59], v[218:219], v[156:159]// 000000004574: D3D7009C 0E73B53A
	buffer_load_dwordx4 a[188:191], v39, s[24:27], 0 offen offset:3072// 00000000457C: E05C1C00 8086BC27
	v_mfma_i32_16x16x32_i8 v[156:159], a[60:61], v[220:221], v[156:159]// 000000004584: D3D7009C 0E73B93C
	v_mfma_i32_16x16x32_i8 v[156:159], a[62:63], v[222:223], v[156:159]// 00000000458C: D3D7009C 0E73BD3E
	v_mul_f32_e32 v224, v22, v224                              // 000000004594: 0BC1C116
	v_mul_f32_e32 v225, v22, v225                              // 000000004598: 0BC3C316
	v_mul_f32_e32 v226, v22, v226                              // 00000000459C: 0BC5C516
	v_mul_f32_e32 v227, v22, v227                              // 0000000045A0: 0BC7C716
	v_cvt_i32_f32_e32 v224, v224                               // 0000000045A4: 7FC011E0
	v_cvt_i32_f32_e32 v225, v225                               // 0000000045A8: 7FC211E1
	v_cvt_i32_f32_e32 v226, v226                               // 0000000045AC: 7FC411E2
	v_cvt_i32_f32_e32 v227, v227                               // 0000000045B0: 7FC611E3
	v_perm_b32 v224, v225, v224, s53                           // 0000000045B4: D1ED00E0 00D7C1E1
	v_perm_b32 v224, v226, v224, s54                           // 0000000045BC: D1ED00E0 00DBC1E2
	v_perm_b32 v224, v227, v224, s55                           // 0000000045C4: D1ED00E0 00DFC1E3
	v_mul_f32_e32 v228, v23, v228                              // 0000000045CC: 0BC9C917
	v_mul_f32_e32 v229, v23, v229                              // 0000000045D0: 0BCBCB17
	v_mul_f32_e32 v230, v23, v230                              // 0000000045D4: 0BCDCD17
	v_mul_f32_e32 v231, v23, v231                              // 0000000045D8: 0BCFCF17
	v_cvt_i32_f32_e32 v228, v228                               // 0000000045DC: 7FC811E4
	v_cvt_i32_f32_e32 v229, v229                               // 0000000045E0: 7FCA11E5
	v_cvt_i32_f32_e32 v230, v230                               // 0000000045E4: 7FCC11E6
	v_cvt_i32_f32_e32 v231, v231                               // 0000000045E8: 7FCE11E7
	v_perm_b32 v225, v229, v228, s53                           // 0000000045EC: D1ED00E1 00D7C9E5
	v_perm_b32 v225, v230, v225, s54                           // 0000000045F4: D1ED00E1 00DBC3E6
	v_perm_b32 v225, v231, v225, s55                           // 0000000045FC: D1ED00E1 00DFC3E7
	s_waitcnt vmcnt(40)                                        // 000000004604: BF8C8F78
	v_mfma_i32_16x16x32_i8 v[160:163], a[64:65], v[192:193], 0 // 000000004608: D3D700A0 0A038140
	v_mfma_i32_16x16x32_i8 v[160:163], a[66:67], v[194:195], v[160:163]// 000000004610: D3D700A0 0E838542
	buffer_load_dwordx4 a[192:195], v40, s[24:27], 0 offen     // 000000004618: E05C1000 8086C028
	v_mfma_i32_16x16x32_i8 v[160:163], a[68:69], v[196:197], v[160:163]// 000000004620: D3D700A0 0E838944
	v_mfma_i32_16x16x32_i8 v[160:163], a[70:71], v[198:199], v[160:163]// 000000004628: D3D700A0 0E838D46
	s_add_u32 s60, 0x300, s80                                  // 000000004630: 803C50FF 00000300
	s_cmp_lt_u32 s60, s81                                      // 000000004638: BF0A513C
	s_cselect_b32 s57, s57, 0                                  // 00000000463C: 85398039
	s_cselect_b32 s84, s84, 0                                  // 000000004640: 85548054
	v_mfma_i32_16x16x32_i8 v[160:163], a[72:73], v[200:201], v[160:163]// 000000004644: D3D700A0 0E839148
	v_mfma_i32_16x16x32_i8 v[160:163], a[74:75], v[202:203], v[160:163]// 00000000464C: D3D700A0 0E83954A
	buffer_load_dwordx4 a[196:199], v40, s[24:27], 0 offen offset:1024// 000000004654: E05C1400 8086C428
	v_mfma_i32_16x16x32_i8 v[160:163], a[76:77], v[204:205], v[160:163]// 00000000465C: D3D700A0 0E83994C
	v_mfma_i32_16x16x32_i8 v[160:163], a[78:79], v[206:207], v[160:163]// 000000004664: D3D700A0 0E839D4E
	s_add_u32 s60, 0x200, s80                                  // 00000000466C: 803C50FF 00000200
	s_cmp_lt_u32 s60, s81                                      // 000000004674: BF0A513C
	s_cselect_b32 s58, s58, 0                                  // 000000004678: 853A803A
	v_mul_f32_e32 v232, v22, v232                              // 00000000467C: 0BD1D116
	v_mul_f32_e32 v233, v22, v233                              // 000000004680: 0BD3D316
	v_mul_f32_e32 v234, v22, v234                              // 000000004684: 0BD5D516
	v_mul_f32_e32 v235, v22, v235                              // 000000004688: 0BD7D716
	v_cvt_i32_f32_e32 v232, v232                               // 00000000468C: 7FD011E8
	v_cvt_i32_f32_e32 v233, v233                               // 000000004690: 7FD211E9
	v_cvt_i32_f32_e32 v234, v234                               // 000000004694: 7FD411EA
	v_cvt_i32_f32_e32 v235, v235                               // 000000004698: 7FD611EB
	v_perm_b32 v226, v233, v232, s53                           // 00000000469C: D1ED00E2 00D7D1E9
	v_perm_b32 v226, v234, v226, s54                           // 0000000046A4: D1ED00E2 00DBC5EA
	v_perm_b32 v226, v235, v226, s55                           // 0000000046AC: D1ED00E2 00DFC5EB
	v_mul_f32_e32 v236, v23, v236                              // 0000000046B4: 0BD9D917
	v_mul_f32_e32 v237, v23, v237                              // 0000000046B8: 0BDBDB17
	v_mul_f32_e32 v238, v23, v238                              // 0000000046BC: 0BDDDD17
	v_mul_f32_e32 v239, v23, v239                              // 0000000046C0: 0BDFDF17
	v_cvt_i32_f32_e32 v236, v236                               // 0000000046C4: 7FD811EC
	v_cvt_i32_f32_e32 v237, v237                               // 0000000046C8: 7FDA11ED
	v_cvt_i32_f32_e32 v238, v238                               // 0000000046CC: 7FDC11EE
	v_cvt_i32_f32_e32 v239, v239                               // 0000000046D0: 7FDE11EF
	v_perm_b32 v227, v237, v236, s53                           // 0000000046D4: D1ED00E3 00D7D9ED
	v_perm_b32 v227, v238, v227, s54                           // 0000000046DC: D1ED00E3 00DBC7EE
	v_perm_b32 v227, v239, v227, s55                           // 0000000046E4: D1ED00E3 00DFC7EF
	v_mfma_i32_16x16x32_i8 v[164:167], a[64:65], v[208:209], 0 // 0000000046EC: D3D700A4 0A03A140
	ds_write_b32 v12, v224 offset:2048                         // 0000000046F4: D81A0800 0000E00C
	v_mfma_i32_16x16x32_i8 v[164:167], a[66:67], v[210:211], v[164:167]// 0000000046FC: D3D700A4 0E93A542
	buffer_load_dwordx4 a[200:203], v40, s[24:27], 0 offen offset:2048// 000000004704: E05C1800 8086C828
	v_mfma_i32_16x16x32_i8 v[164:167], a[68:69], v[212:213], v[164:167]// 00000000470C: D3D700A4 0E93A944
	ds_write_b32 v12, v225 offset:6144                         // 000000004714: D81A1800 0000E10C
	v_mfma_i32_16x16x32_i8 v[164:167], a[70:71], v[214:215], v[164:167]// 00000000471C: D3D700A4 0E93AD46
	s_add_u32 s20, s57, s20                                    // 000000004724: 80141439
	s_addc_u32 s21, 0, s21                                     // 000000004728: 82151580
	v_mfma_i32_16x16x32_i8 v[164:167], a[72:73], v[216:217], v[164:167]// 00000000472C: D3D700A4 0E93B148
	ds_write_b32 v12, v226 offset:3072                         // 000000004734: D81A0C00 0000E20C
	v_mfma_i32_16x16x32_i8 v[164:167], a[74:75], v[218:219], v[164:167]// 00000000473C: D3D700A4 0E93B54A
	buffer_load_dwordx4 a[204:207], v40, s[24:27], 0 offen offset:3072// 000000004744: E05C1C00 8086CC28
	v_mfma_i32_16x16x32_i8 v[164:167], a[76:77], v[220:221], v[164:167]// 00000000474C: D3D700A4 0E93B94C
	ds_write_b32 v12, v227 offset:7168                         // 000000004754: D81A1C00 0000E30C
	v_mfma_i32_16x16x32_i8 v[164:167], a[78:79], v[222:223], v[164:167]// 00000000475C: D3D700A4 0E93BD4E
	v_mul_f32_e32 v240, v22, v240                              // 000000004764: 0BE1E116
	v_mul_f32_e32 v241, v22, v241                              // 000000004768: 0BE3E316
	v_mul_f32_e32 v242, v22, v242                              // 00000000476C: 0BE5E516
	v_mul_f32_e32 v243, v22, v243                              // 000000004770: 0BE7E716
	v_cvt_i32_f32_e32 v240, v240                               // 000000004774: 7FE011F0
	v_cvt_i32_f32_e32 v241, v241                               // 000000004778: 7FE211F1
	v_cvt_i32_f32_e32 v242, v242                               // 00000000477C: 7FE411F2
	v_cvt_i32_f32_e32 v243, v243                               // 000000004780: 7FE611F3
	v_perm_b32 v228, v241, v240, s53                           // 000000004784: D1ED00E4 00D7E1F1
	v_perm_b32 v228, v242, v228, s54                           // 00000000478C: D1ED00E4 00DBC9F2
	v_perm_b32 v228, v243, v228, s55                           // 000000004794: D1ED00E4 00DFC9F3
	v_mul_f32_e32 v244, v23, v244                              // 00000000479C: 0BE9E917
	v_mul_f32_e32 v245, v23, v245                              // 0000000047A0: 0BEBEB17
	v_mul_f32_e32 v246, v23, v246                              // 0000000047A4: 0BEDED17
	v_mul_f32_e32 v247, v23, v247                              // 0000000047A8: 0BEFEF17
	v_cvt_i32_f32_e32 v244, v244                               // 0000000047AC: 7FE811F4
	v_cvt_i32_f32_e32 v245, v245                               // 0000000047B0: 7FEA11F5
	v_cvt_i32_f32_e32 v246, v246                               // 0000000047B4: 7FEC11F6
	v_cvt_i32_f32_e32 v247, v247                               // 0000000047B8: 7FEE11F7
	v_perm_b32 v229, v245, v244, s53                           // 0000000047BC: D1ED00E5 00D7E9F5
	v_perm_b32 v229, v246, v229, s54                           // 0000000047C4: D1ED00E5 00DBCBF6
	v_perm_b32 v229, v247, v229, s55                           // 0000000047CC: D1ED00E5 00DFCBF7
	v_mfma_i32_16x16x32_i8 v[168:171], a[80:81], v[192:193], 0 // 0000000047D4: D3D700A8 0A038150
	v_mfma_i32_16x16x32_i8 v[168:171], a[82:83], v[194:195], v[168:171]// 0000000047DC: D3D700A8 0EA38552
	buffer_load_dwordx4 a[208:211], v41, s[24:27], 0 offen     // 0000000047E4: E05C1000 8086D029
	v_mfma_i32_16x16x32_i8 v[168:171], a[84:85], v[196:197], v[168:171]// 0000000047EC: D3D700A8 0EA38954
	v_mfma_i32_16x16x32_i8 v[168:171], a[86:87], v[198:199], v[168:171]// 0000000047F4: D3D700A8 0EA38D56
	v_mfma_i32_16x16x32_i8 v[168:171], a[88:89], v[200:201], v[168:171]// 0000000047FC: D3D700A8 0EA39158
	v_mfma_i32_16x16x32_i8 v[168:171], a[90:91], v[202:203], v[168:171]// 000000004804: D3D700A8 0EA3955A
	buffer_load_dwordx4 a[212:215], v41, s[24:27], 0 offen offset:1024// 00000000480C: E05C1400 8086D429
	v_mfma_i32_16x16x32_i8 v[168:171], a[92:93], v[204:205], v[168:171]// 000000004814: D3D700A8 0EA3995C
	v_mfma_i32_16x16x32_i8 v[168:171], a[94:95], v[206:207], v[168:171]// 00000000481C: D3D700A8 0EA39D5E
	v_mul_f32_e32 v248, v22, v248                              // 000000004824: 0BF1F116
	v_mul_f32_e32 v249, v22, v249                              // 000000004828: 0BF3F316
	v_mul_f32_e32 v250, v22, v250                              // 00000000482C: 0BF5F516
	v_mul_f32_e32 v251, v22, v251                              // 000000004830: 0BF7F716
	v_cvt_i32_f32_e32 v248, v248                               // 000000004834: 7FF011F8
	v_cvt_i32_f32_e32 v249, v249                               // 000000004838: 7FF211F9
	v_cvt_i32_f32_e32 v250, v250                               // 00000000483C: 7FF411FA
	v_cvt_i32_f32_e32 v251, v251                               // 000000004840: 7FF611FB
	v_perm_b32 v230, v249, v248, s53                           // 000000004844: D1ED00E6 00D7F1F9
	v_perm_b32 v230, v250, v230, s54                           // 00000000484C: D1ED00E6 00DBCDFA
	v_perm_b32 v230, v251, v230, s55                           // 000000004854: D1ED00E6 00DFCDFB
	v_mul_f32_e32 v252, v23, v252                              // 00000000485C: 0BF9F917
	v_mul_f32_e32 v253, v23, v253                              // 000000004860: 0BFBFB17
	v_mul_f32_e32 v254, v23, v254                              // 000000004864: 0BFDFD17
	v_mul_f32_e32 v255, v23, v255                              // 000000004868: 0BFFFF17
	v_cvt_i32_f32_e32 v252, v252                               // 00000000486C: 7FF811FC
	v_cvt_i32_f32_e32 v253, v253                               // 000000004870: 7FFA11FD
	v_cvt_i32_f32_e32 v254, v254                               // 000000004874: 7FFC11FE
	v_cvt_i32_f32_e32 v255, v255                               // 000000004878: 7FFE11FF
	v_perm_b32 v231, v253, v252, s53                           // 00000000487C: D1ED00E7 00D7F9FD
	v_perm_b32 v231, v254, v231, s54                           // 000000004884: D1ED00E7 00DBCFFE
	v_perm_b32 v231, v255, v231, s55                           // 00000000488C: D1ED00E7 00DFCFFF
	v_mfma_i32_16x16x32_i8 v[172:175], a[80:81], v[208:209], 0 // 000000004894: D3D700AC 0A03A150
	ds_write_b32 v12, v228 offset:4096                         // 00000000489C: D81A1000 0000E40C
	v_mfma_i32_16x16x32_i8 v[172:175], a[82:83], v[210:211], v[172:175]// 0000000048A4: D3D700AC 0EB3A552
	buffer_load_dwordx4 a[216:219], v41, s[24:27], 0 offen offset:2048// 0000000048AC: E05C1800 8086D829
	v_mfma_i32_16x16x32_i8 v[172:175], a[84:85], v[212:213], v[172:175]// 0000000048B4: D3D700AC 0EB3A954
	ds_write_b32 v12, v229 offset:8192                         // 0000000048BC: D81A2000 0000E50C
	v_mfma_i32_16x16x32_i8 v[172:175], a[86:87], v[214:215], v[172:175]// 0000000048C4: D3D700AC 0EB3AD56
	v_mfma_i32_16x16x32_i8 v[172:175], a[88:89], v[216:217], v[172:175]// 0000000048CC: D3D700AC 0EB3B158
	ds_write_b32 v12, v230 offset:5120                         // 0000000048D4: D81A1400 0000E60C
	v_mfma_i32_16x16x32_i8 v[172:175], a[90:91], v[218:219], v[172:175]// 0000000048DC: D3D700AC 0EB3B55A
	buffer_load_dwordx4 a[220:223], v41, s[24:27], 0 offen offset:3072// 0000000048E4: E05C1C00 8086DC29
	v_mfma_i32_16x16x32_i8 v[172:175], a[92:93], v[220:221], v[172:175]// 0000000048EC: D3D700AC 0EB3B95C
	ds_write_b32 v12, v231 offset:9216                         // 0000000048F4: D81A2400 0000E70C
	v_mfma_i32_16x16x32_i8 v[172:175], a[94:95], v[222:223], v[172:175]// 0000000048FC: D3D700AC 0EB3BD5E
	v_cvt_f32_i32_e32 v144, v144                               // 000000004904: 7F200B90
	v_cvt_f32_i32_e32 v145, v145                               // 000000004908: 7F220B91
	v_cvt_f32_i32_e32 v146, v146                               // 00000000490C: 7F240B92
	v_cvt_f32_i32_e32 v147, v147                               // 000000004910: 7F260B93
	v_cvt_f32_i32_e32 v148, v148                               // 000000004914: 7F280B94
	v_cvt_f32_i32_e32 v149, v149                               // 000000004918: 7F2A0B95
	v_cvt_f32_i32_e32 v150, v150                               // 00000000491C: 7F2C0B96
	v_cvt_f32_i32_e32 v151, v151                               // 000000004920: 7F2E0B97
	v_cvt_f32_i32_e32 v152, v152                               // 000000004924: 7F300B98
	v_cvt_f32_i32_e32 v153, v153                               // 000000004928: 7F320B99
	v_cvt_f32_i32_e32 v154, v154                               // 00000000492C: 7F340B9A
	v_cvt_f32_i32_e32 v155, v155                               // 000000004930: 7F360B9B
	v_cvt_f32_i32_e32 v156, v156                               // 000000004934: 7F380B9C
	v_cvt_f32_i32_e32 v157, v157                               // 000000004938: 7F3A0B9D
	v_cvt_f32_i32_e32 v158, v158                               // 00000000493C: 7F3C0B9E
	v_cvt_f32_i32_e32 v159, v159                               // 000000004940: 7F3E0B9F
	s_waitcnt lgkmcnt(0)                                       // 000000004944: BF8CC07F
	s_barrier                                                  // 000000004948: BF8A0000
	s_waitcnt vmcnt(40)                                        // 00000000494C: BF8C8F78
	v_mfma_i32_16x16x32_i8 v[176:179], a[96:97], v[192:193], 0 // 000000004950: D3D700B0 0A038160
	ds_read_b64 v[224:225], v13 offset:2048                    // 000000004958: D8EC0800 E000000D
	ds_read_b64 v[226:227], v13 offset:2176                    // 000000004960: D8EC0880 E200000D
	v_mfma_i32_16x16x32_i8 v[176:179], a[98:99], v[194:195], v[176:179]// 000000004968: D3D700B0 0EC38562
	buffer_load_dwordx4 a[224:227], v42, s[24:27], 0 offen     // 000000004970: E05C1000 8086E02A
	v_mfma_i32_16x16x32_i8 v[176:179], a[100:101], v[196:197], v[176:179]// 000000004978: D3D700B0 0EC38964
	ds_read_b64 v[228:229], v13 offset:3072                    // 000000004980: D8EC0C00 E400000D
	ds_read_b64 v[230:231], v13 offset:3200                    // 000000004988: D8EC0C80 E600000D
	v_mfma_i32_16x16x32_i8 v[176:179], a[102:103], v[198:199], v[176:179]// 000000004990: D3D700B0 0EC38D66
	v_mfma_i32_16x16x32_i8 v[176:179], a[104:105], v[200:201], v[176:179]// 000000004998: D3D700B0 0EC39168
	ds_read_b64 v[232:233], v13 offset:4096                    // 0000000049A0: D8EC1000 E800000D
	ds_read_b64 v[234:235], v13 offset:4224                    // 0000000049A8: D8EC1080 EA00000D
	v_mfma_i32_16x16x32_i8 v[176:179], a[106:107], v[202:203], v[176:179]// 0000000049B0: D3D700B0 0EC3956A
	buffer_load_dwordx4 a[228:231], v42, s[24:27], 0 offen offset:1024// 0000000049B8: E05C1400 8086E42A
	v_mfma_i32_16x16x32_i8 v[176:179], a[108:109], v[204:205], v[176:179]// 0000000049C0: D3D700B0 0EC3996C
	ds_read_b64 v[236:237], v13 offset:5120                    // 0000000049C8: D8EC1400 EC00000D
	ds_read_b64 v[238:239], v13 offset:5248                    // 0000000049D0: D8EC1480 EE00000D
	v_mfma_i32_16x16x32_i8 v[176:179], a[110:111], v[206:207], v[176:179]// 0000000049D8: D3D700B0 0EC39D6E
	v_cvt_f32_i32_e32 v160, v160                               // 0000000049E0: 7F400BA0
	v_cvt_f32_i32_e32 v161, v161                               // 0000000049E4: 7F420BA1
	v_cvt_f32_i32_e32 v162, v162                               // 0000000049E8: 7F440BA2
	v_cvt_f32_i32_e32 v163, v163                               // 0000000049EC: 7F460BA3
	v_cvt_f32_i32_e32 v164, v164                               // 0000000049F0: 7F480BA4
	v_cvt_f32_i32_e32 v165, v165                               // 0000000049F4: 7F4A0BA5
	v_cvt_f32_i32_e32 v166, v166                               // 0000000049F8: 7F4C0BA6
	v_cvt_f32_i32_e32 v167, v167                               // 0000000049FC: 7F4E0BA7
	v_pk_fma_f32 v[80:81], v[24:25], v[144:145], v[80:81]      // 000000004A00: D3B04050 1D432118
	v_pk_fma_f32 v[82:83], v[24:25], v[146:147], v[82:83]      // 000000004A08: D3B04052 1D4B2518
	v_pk_fma_f32 v[84:85], v[8:9], v[148:149], v[84:85]        // 000000004A10: D3B04054 1D532908
	v_pk_fma_f32 v[86:87], v[8:9], v[150:151], v[86:87]        // 000000004A18: D3B04056 1D5B2D08
	v_pk_fma_f32 v[88:89], v[24:25], v[152:153], v[88:89]      // 000000004A20: D3B04058 1D633118
	v_pk_fma_f32 v[90:91], v[24:25], v[154:155], v[90:91]      // 000000004A28: D3B0405A 1D6B3518
	v_pk_fma_f32 v[92:93], v[8:9], v[156:157], v[92:93]        // 000000004A30: D3B0405C 1D733908
	v_pk_fma_f32 v[94:95], v[8:9], v[158:159], v[94:95]        // 000000004A38: D3B0405E 1D7B3D08
	v_mfma_i32_16x16x32_i8 v[180:183], a[96:97], v[208:209], 0 // 000000004A40: D3D700B4 0A03A160
	ds_read_b64 v[240:241], v13 offset:6144                    // 000000004A48: D8EC1800 F000000D
	ds_read_b64 v[242:243], v13 offset:6272                    // 000000004A50: D8EC1880 F200000D
	v_mfma_i32_16x16x32_i8 v[180:183], a[98:99], v[210:211], v[180:183]// 000000004A58: D3D700B4 0ED3A562
	buffer_load_dwordx4 a[232:235], v42, s[24:27], 0 offen offset:2048// 000000004A60: E05C1800 8086E82A
	v_mfma_i32_16x16x32_i8 v[180:183], a[100:101], v[212:213], v[180:183]// 000000004A68: D3D700B4 0ED3A964
	ds_read_b64 v[244:245], v13 offset:7168                    // 000000004A70: D8EC1C00 F400000D
	ds_read_b64 v[246:247], v13 offset:7296                    // 000000004A78: D8EC1C80 F600000D
	v_mfma_i32_16x16x32_i8 v[180:183], a[102:103], v[214:215], v[180:183]// 000000004A80: D3D700B4 0ED3AD66
	v_mfma_i32_16x16x32_i8 v[180:183], a[104:105], v[216:217], v[180:183]// 000000004A88: D3D700B4 0ED3B168
	ds_read_b64 v[248:249], v13 offset:8192                    // 000000004A90: D8EC2000 F800000D
	ds_read_b64 v[250:251], v13 offset:8320                    // 000000004A98: D8EC2080 FA00000D
	v_mfma_i32_16x16x32_i8 v[180:183], a[106:107], v[218:219], v[180:183]// 000000004AA0: D3D700B4 0ED3B56A
	buffer_load_dwordx4 a[236:239], v42, s[24:27], 0 offen offset:3072// 000000004AA8: E05C1C00 8086EC2A
	v_mfma_i32_16x16x32_i8 v[180:183], a[108:109], v[220:221], v[180:183]// 000000004AB0: D3D700B4 0ED3B96C
	ds_read_b64 v[252:253], v13 offset:9216                    // 000000004AB8: D8EC2400 FC00000D
	ds_read_b64 v[254:255], v13 offset:9344                    // 000000004AC0: D8EC2480 FE00000D
	v_mfma_i32_16x16x32_i8 v[180:183], a[110:111], v[222:223], v[180:183]// 000000004AC8: D3D700B4 0ED3BD6E
	v_cvt_f32_i32_e32 v168, v168                               // 000000004AD0: 7F500BA8
	v_cvt_f32_i32_e32 v169, v169                               // 000000004AD4: 7F520BA9
	v_cvt_f32_i32_e32 v170, v170                               // 000000004AD8: 7F540BAA
	v_cvt_f32_i32_e32 v171, v171                               // 000000004ADC: 7F560BAB
	v_cvt_f32_i32_e32 v172, v172                               // 000000004AE0: 7F580BAC
	v_cvt_f32_i32_e32 v173, v173                               // 000000004AE4: 7F5A0BAD
	v_cvt_f32_i32_e32 v174, v174                               // 000000004AE8: 7F5C0BAE
	v_cvt_f32_i32_e32 v175, v175                               // 000000004AEC: 7F5E0BAF
	v_pk_fma_f32 v[96:97], v[24:25], v[160:161], v[96:97]      // 000000004AF0: D3B04060 1D834118
	v_pk_fma_f32 v[98:99], v[24:25], v[162:163], v[98:99]      // 000000004AF8: D3B04062 1D8B4518
	v_pk_fma_f32 v[100:101], v[8:9], v[164:165], v[100:101]    // 000000004B00: D3B04064 1D934908
	v_pk_fma_f32 v[102:103], v[8:9], v[166:167], v[102:103]    // 000000004B08: D3B04066 1D9B4D08
	v_pk_fma_f32 v[104:105], v[24:25], v[168:169], v[104:105]  // 000000004B10: D3B04068 1DA35118
	v_pk_fma_f32 v[106:107], v[24:25], v[170:171], v[106:107]  // 000000004B18: D3B0406A 1DAB5518
	v_pk_fma_f32 v[108:109], v[8:9], v[172:173], v[108:109]    // 000000004B20: D3B0406C 1DB35908
	v_pk_fma_f32 v[110:111], v[8:9], v[174:175], v[110:111]    // 000000004B28: D3B0406E 1DBB5D08
	v_mfma_i32_16x16x32_i8 v[184:187], a[112:113], v[192:193], 0// 000000004B30: D3D700B8 0A038170
	v_mfma_i32_16x16x32_i8 v[184:187], a[114:115], v[194:195], v[184:187]// 000000004B38: D3D700B8 0EE38572
	buffer_load_dwordx4 a[240:243], v43, s[24:27], 0 offen     // 000000004B40: E05C1000 8086F02B
	v_mfma_i32_16x16x32_i8 v[184:187], a[116:117], v[196:197], v[184:187]// 000000004B48: D3D700B8 0EE38974
	v_mfma_i32_16x16x32_i8 v[184:187], a[118:119], v[198:199], v[184:187]// 000000004B50: D3D700B8 0EE38D76
	v_mfma_i32_16x16x32_i8 v[184:187], a[120:121], v[200:201], v[184:187]// 000000004B58: D3D700B8 0EE39178
	v_mfma_i32_16x16x32_i8 v[184:187], a[122:123], v[202:203], v[184:187]// 000000004B60: D3D700B8 0EE3957A
	buffer_load_dwordx4 a[244:247], v43, s[24:27], 0 offen offset:1024// 000000004B68: E05C1400 8086F42B
	v_mfma_i32_16x16x32_i8 v[184:187], a[124:125], v[204:205], v[184:187]// 000000004B70: D3D700B8 0EE3997C
	v_mfma_i32_16x16x32_i8 v[184:187], a[126:127], v[206:207], v[184:187]// 000000004B78: D3D700B8 0EE39D7E
	v_mfma_i32_16x16x32_i8 v[188:191], a[112:113], v[208:209], 0// 000000004B80: D3D700BC 0A03A170
	v_mfma_i32_16x16x32_i8 v[188:191], a[114:115], v[210:211], v[188:191]// 000000004B88: D3D700BC 0EF3A572
	buffer_load_dwordx4 a[248:251], v43, s[24:27], 0 offen offset:2048// 000000004B90: E05C1800 8086F82B
	v_mfma_i32_16x16x32_i8 v[188:191], a[116:117], v[212:213], v[188:191]// 000000004B98: D3D700BC 0EF3A974
	v_mfma_i32_16x16x32_i8 v[188:191], a[118:119], v[214:215], v[188:191]// 000000004BA0: D3D700BC 0EF3AD76
	v_mfma_i32_16x16x32_i8 v[188:191], a[120:121], v[216:217], v[188:191]// 000000004BA8: D3D700BC 0EF3B178
	v_mfma_i32_16x16x32_i8 v[188:191], a[122:123], v[218:219], v[188:191]// 000000004BB0: D3D700BC 0EF3B57A
	buffer_load_dwordx4 a[252:255], v43, s[24:27], 0 offen offset:3072// 000000004BB8: E05C1C00 8086FC2B
	v_mfma_i32_16x16x32_i8 v[188:191], a[124:125], v[220:221], v[188:191]// 000000004BC0: D3D700BC 0EF3B97C
	v_mfma_i32_16x16x32_i8 v[188:191], a[126:127], v[222:223], v[188:191]// 000000004BC8: D3D700BC 0EF3BD7E
	s_add_u32 s24, s58, s24                                    // 000000004BD0: 8018183A
	s_addc_u32 s25, 0, s25                                     // 000000004BD4: 82191980
	s_add_u32 s28, s84, s28                                    // 000000004BD8: 801C1C54
	s_addc_u32 s29, 0, s29                                     // 000000004BDC: 821D1D80
	v_cvt_f32_i32_e32 v176, v176                               // 000000004BE0: 7F600BB0
	v_cvt_f32_i32_e32 v177, v177                               // 000000004BE4: 7F620BB1
	v_cvt_f32_i32_e32 v178, v178                               // 000000004BE8: 7F640BB2
	v_cvt_f32_i32_e32 v179, v179                               // 000000004BEC: 7F660BB3
	v_cvt_f32_i32_e32 v180, v180                               // 000000004BF0: 7F680BB4
	v_cvt_f32_i32_e32 v181, v181                               // 000000004BF4: 7F6A0BB5
	v_cvt_f32_i32_e32 v182, v182                               // 000000004BF8: 7F6C0BB6
	v_cvt_f32_i32_e32 v183, v183                               // 000000004BFC: 7F6E0BB7
	v_cvt_f32_i32_e32 v184, v184                               // 000000004C00: 7F700BB8
	v_cvt_f32_i32_e32 v185, v185                               // 000000004C04: 7F720BB9
	v_cvt_f32_i32_e32 v186, v186                               // 000000004C08: 7F740BBA
	v_cvt_f32_i32_e32 v187, v187                               // 000000004C0C: 7F760BBB
	v_cvt_f32_i32_e32 v188, v188                               // 000000004C10: 7F780BBC
	v_cvt_f32_i32_e32 v189, v189                               // 000000004C14: 7F7A0BBD
	v_cvt_f32_i32_e32 v190, v190                               // 000000004C18: 7F7C0BBE
	v_cvt_f32_i32_e32 v191, v191                               // 000000004C1C: 7F7E0BBF
	v_pk_fma_f32 v[112:113], v[24:25], v[176:177], v[112:113]  // 000000004C20: D3B04070 1DC36118
	v_pk_fma_f32 v[114:115], v[24:25], v[178:179], v[114:115]  // 000000004C28: D3B04072 1DCB6518
	v_pk_fma_f32 v[116:117], v[8:9], v[180:181], v[116:117]    // 000000004C30: D3B04074 1DD36908
	v_pk_fma_f32 v[118:119], v[8:9], v[182:183], v[118:119]    // 000000004C38: D3B04076 1DDB6D08
	v_pk_fma_f32 v[120:121], v[24:25], v[184:185], v[120:121]  // 000000004C40: D3B04078 1DE37118
	v_pk_fma_f32 v[122:123], v[24:25], v[186:187], v[122:123]  // 000000004C48: D3B0407A 1DEB7518
	v_pk_fma_f32 v[124:125], v[8:9], v[188:189], v[124:125]    // 000000004C50: D3B0407C 1DF37908
	v_pk_fma_f32 v[126:127], v[8:9], v[190:191], v[126:127]    // 000000004C58: D3B0407E 1DFB7D08
	s_addk_i32 s80, 0x100                                      // 000000004C60: B7500100
	s_cmp_lt_i32 s80, s81                                      // 000000004C64: BF045150
	s_cbranch_scc0 label_0B42                                  // 000000004C68: BF8403A7
	s_waitcnt vmcnt(24) lgkmcnt(0)                             // 000000004C6C: BF8C4078
	s_barrier                                                  // 000000004C70: BF8A0000
	v_mfma_i32_16x16x32_i8 v[128:131], a[128:129], v[224:225], 0// 000000004C74: D3D70080 0A03C180
	ds_read_b64 v[192:193], v2 offset:18432                    // 000000004C7C: D8EC4800 C0000002
	ds_read_b64 v[196:197], v2 offset:26752                    // 000000004C84: D8EC6880 C4000002
	v_mfma_i32_16x16x32_i8 v[128:131], a[130:131], v[226:227], v[128:131]// 000000004C8C: D3D70080 0E03C582
	buffer_load_dwordx4 a[0:3], v36, s[24:27], 0 offen         // 000000004C94: E05C1000 80860024
	v_mfma_i32_16x16x32_i8 v[128:131], a[132:133], v[228:229], v[128:131]// 000000004C9C: D3D70080 0E03C984
	ds_read_b64 v[200:201], v2 offset:18560                    // 000000004CA4: D8EC4880 C8000002
	ds_read_b64 v[204:205], v2 offset:26880                    // 000000004CAC: D8EC6900 CC000002
	v_mfma_i32_16x16x32_i8 v[128:131], a[134:135], v[230:231], v[128:131]// 000000004CB4: D3D70080 0E03CD86
	buffer_load_dword v28, s[20:23], 0 offen lds               // 000000004CBC: E0511000 8005001C
	buffer_load_dword v28, s[20:23], 0 offen offset:256 lds    // 000000004CC4: E0511100 8005001C
	s_add_u32 m0, 0x820, s51                                   // 000000004CCC: 807C33FF 00000820
	buffer_load_dword v15, v6, s[28:31], 0 offen               // 000000004CD4: E0501000 80070F06
	v_mfma_i32_16x16x32_i8 v[128:131], a[136:137], v[232:233], v[128:131]// 000000004CDC: D3D70080 0E03D188
	ds_read_b64 v[208:209], v2 offset:18688                    // 000000004CE4: D8EC4900 D0000002
	ds_read_b64 v[212:213], v2 offset:27008                    // 000000004CEC: D8EC6980 D4000002
	v_mfma_i32_16x16x32_i8 v[128:131], a[138:139], v[234:235], v[128:131]// 000000004CF4: D3D70080 0E03D58A
	buffer_load_dwordx4 a[4:7], v36, s[24:27], 0 offen offset:1024// 000000004CFC: E05C1400 80860424
	v_mfma_i32_16x16x32_i8 v[128:131], a[140:141], v[236:237], v[128:131]// 000000004D04: D3D70080 0E03D98C
	ds_read_b64 v[216:217], v2 offset:18816                    // 000000004D0C: D8EC4980 D8000002
	ds_read_b64 v[220:221], v2 offset:27136                    // 000000004D14: D8EC6A00 DC000002
	v_mfma_i32_16x16x32_i8 v[128:131], a[142:143], v[238:239], v[128:131]// 000000004D1C: D3D70080 0E03DD8E
	buffer_load_dword v29, s[20:23], 0 offen lds               // 000000004D24: E0511000 8005001D
	buffer_load_dword v29, s[20:23], 0 offen offset:256 lds    // 000000004D2C: E0511100 8005001D
	s_add_u32 m0, 0x1040, s51                                  // 000000004D34: 807C33FF 00001040
	s_waitcnt lgkmcnt(4)                                       // 000000004D3C: BF8CC47F
	v_and_b32_e32 v195, 0xffff0000, v193                       // 000000004D40: 278782FF FFFF0000
	v_lshlrev_b32_e32 v194, 16, v193                           // 000000004D48: 25858290
	v_and_b32_e32 v193, 0xffff0000, v192                       // 000000004D4C: 278380FF FFFF0000
	v_lshlrev_b32_e32 v192, 16, v192                           // 000000004D54: 25818090
	v_and_b32_e32 v199, 0xffff0000, v197                       // 000000004D58: 278F8AFF FFFF0000
	v_lshlrev_b32_e32 v198, 16, v197                           // 000000004D60: 258D8A90
	v_and_b32_e32 v197, 0xffff0000, v196                       // 000000004D64: 278B88FF FFFF0000
	v_lshlrev_b32_e32 v196, 16, v196                           // 000000004D6C: 25898890
	v_and_b32_e32 v203, 0xffff0000, v201                       // 000000004D70: 279792FF FFFF0000
	v_lshlrev_b32_e32 v202, 16, v201                           // 000000004D78: 25959290
	v_and_b32_e32 v201, 0xffff0000, v200                       // 000000004D7C: 279390FF FFFF0000
	v_lshlrev_b32_e32 v200, 16, v200                           // 000000004D84: 25919090
	v_and_b32_e32 v207, 0xffff0000, v205                       // 000000004D88: 279F9AFF FFFF0000
	v_lshlrev_b32_e32 v206, 16, v205                           // 000000004D90: 259D9A90
	v_and_b32_e32 v205, 0xffff0000, v204                       // 000000004D94: 279B98FF FFFF0000
	v_lshlrev_b32_e32 v204, 16, v204                           // 000000004D9C: 25999890
	v_mul_f32_dpp v192, v14, v192 row_newbcast:0 row_mask:0xf bank_mask:0xf// 000000004DA0: 0B8180FA FF01500E
	v_mul_f32_dpp v193, v14, v193 row_newbcast:1 row_mask:0xf bank_mask:0xf// 000000004DA8: 0B8382FA FF01510E
	v_mul_f32_dpp v194, v14, v194 row_newbcast:2 row_mask:0xf bank_mask:0xf// 000000004DB0: 0B8584FA FF01520E
	v_mul_f32_dpp v195, v14, v195 row_newbcast:3 row_mask:0xf bank_mask:0xf// 000000004DB8: 0B8786FA FF01530E
	v_mul_f32_dpp v196, v14, v196 row_newbcast:0 row_mask:0xf bank_mask:0xf// 000000004DC0: 0B8988FA FF01500E
	v_mul_f32_dpp v197, v14, v197 row_newbcast:1 row_mask:0xf bank_mask:0xf// 000000004DC8: 0B8B8AFA FF01510E
	v_mul_f32_dpp v198, v14, v198 row_newbcast:2 row_mask:0xf bank_mask:0xf// 000000004DD0: 0B8D8CFA FF01520E
	v_mul_f32_dpp v199, v14, v199 row_newbcast:3 row_mask:0xf bank_mask:0xf// 000000004DD8: 0B8F8EFA FF01530E
	v_mul_f32_dpp v200, v14, v200 row_newbcast:4 row_mask:0xf bank_mask:0xf// 000000004DE0: 0B9190FA FF01540E
	v_mul_f32_dpp v201, v14, v201 row_newbcast:5 row_mask:0xf bank_mask:0xf// 000000004DE8: 0B9392FA FF01550E
	v_mul_f32_dpp v202, v14, v202 row_newbcast:6 row_mask:0xf bank_mask:0xf// 000000004DF0: 0B9594FA FF01560E
	v_mul_f32_dpp v203, v14, v203 row_newbcast:7 row_mask:0xf bank_mask:0xf// 000000004DF8: 0B9796FA FF01570E
	v_mul_f32_dpp v204, v14, v204 row_newbcast:4 row_mask:0xf bank_mask:0xf// 000000004E00: 0B9998FA FF01540E
	v_mul_f32_dpp v205, v14, v205 row_newbcast:5 row_mask:0xf bank_mask:0xf// 000000004E08: 0B9B9AFA FF01550E
	v_mul_f32_dpp v206, v14, v206 row_newbcast:6 row_mask:0xf bank_mask:0xf// 000000004E10: 0B9D9CFA FF01560E
	v_mul_f32_dpp v207, v14, v207 row_newbcast:7 row_mask:0xf bank_mask:0xf// 000000004E18: 0B9F9EFA FF01570E
	v_mfma_i32_16x16x32_i8 v[132:135], a[128:129], v[240:241], 0// 000000004E20: D3D70084 0A03E180
	v_mfma_i32_16x16x32_i8 v[132:135], a[130:131], v[242:243], v[132:135]// 000000004E28: D3D70084 0E13E582
	buffer_load_dwordx4 a[8:11], v36, s[24:27], 0 offen offset:2048// 000000004E30: E05C1800 80860824
	v_mfma_i32_16x16x32_i8 v[132:135], a[132:133], v[244:245], v[132:135]// 000000004E38: D3D70084 0E13E984
	v_mfma_i32_16x16x32_i8 v[132:135], a[134:135], v[246:247], v[132:135]// 000000004E40: D3D70084 0E13ED86
	buffer_load_dword v30, s[20:23], 0 offen lds               // 000000004E48: E0511000 8005001E
	buffer_load_dword v30, s[20:23], 0 offen offset:256 lds    // 000000004E50: E0511100 8005001E
	s_add_u32 m0, 0x1860, s51                                  // 000000004E58: 807C33FF 00001860
	v_mfma_i32_16x16x32_i8 v[132:135], a[136:137], v[248:249], v[132:135]// 000000004E60: D3D70084 0E13F188
	v_mfma_i32_16x16x32_i8 v[132:135], a[138:139], v[250:251], v[132:135]// 000000004E68: D3D70084 0E13F58A
	buffer_load_dwordx4 a[12:15], v36, s[24:27], 0 offen offset:3072// 000000004E70: E05C1C00 80860C24
	v_mfma_i32_16x16x32_i8 v[132:135], a[140:141], v[252:253], v[132:135]// 000000004E78: D3D70084 0E13F98C
	v_mfma_i32_16x16x32_i8 v[132:135], a[142:143], v[254:255], v[132:135]// 000000004E80: D3D70084 0E13FD8E
	buffer_load_dword v31, s[20:23], 0 offen lds               // 000000004E88: E0511000 8005001F
	buffer_load_dword v31, s[20:23], 0 offen offset:256 lds    // 000000004E90: E0511100 8005001F
	s_add_u32 m0, 0x2080, s51                                  // 000000004E98: 807C33FF 00002080
	s_waitcnt lgkmcnt(0)                                       // 000000004EA0: BF8CC07F
	v_and_b32_e32 v211, 0xffff0000, v209                       // 000000004EA4: 27A7A2FF FFFF0000
	v_lshlrev_b32_e32 v210, 16, v209                           // 000000004EAC: 25A5A290
	v_and_b32_e32 v209, 0xffff0000, v208                       // 000000004EB0: 27A3A0FF FFFF0000
	v_lshlrev_b32_e32 v208, 16, v208                           // 000000004EB8: 25A1A090
	v_and_b32_e32 v215, 0xffff0000, v213                       // 000000004EBC: 27AFAAFF FFFF0000
	v_lshlrev_b32_e32 v214, 16, v213                           // 000000004EC4: 25ADAA90
	v_and_b32_e32 v213, 0xffff0000, v212                       // 000000004EC8: 27ABA8FF FFFF0000
	v_lshlrev_b32_e32 v212, 16, v212                           // 000000004ED0: 25A9A890
	v_and_b32_e32 v219, 0xffff0000, v217                       // 000000004ED4: 27B7B2FF FFFF0000
	v_lshlrev_b32_e32 v218, 16, v217                           // 000000004EDC: 25B5B290
	v_and_b32_e32 v217, 0xffff0000, v216                       // 000000004EE0: 27B3B0FF FFFF0000
	v_lshlrev_b32_e32 v216, 16, v216                           // 000000004EE8: 25B1B090
	v_and_b32_e32 v223, 0xffff0000, v221                       // 000000004EEC: 27BFBAFF FFFF0000
	v_lshlrev_b32_e32 v222, 16, v221                           // 000000004EF4: 25BDBA90
	v_and_b32_e32 v221, 0xffff0000, v220                       // 000000004EF8: 27BBB8FF FFFF0000
	v_lshlrev_b32_e32 v220, 16, v220                           // 000000004F00: 25B9B890
	v_mul_f32_dpp v208, v14, v208 row_newbcast:8 row_mask:0xf bank_mask:0xf// 000000004F04: 0BA1A0FA FF01580E
	v_mul_f32_dpp v209, v14, v209 row_newbcast:9 row_mask:0xf bank_mask:0xf// 000000004F0C: 0BA3A2FA FF01590E
	v_mul_f32_dpp v210, v14, v210 row_newbcast:10 row_mask:0xf bank_mask:0xf// 000000004F14: 0BA5A4FA FF015A0E
	v_mul_f32_dpp v211, v14, v211 row_newbcast:11 row_mask:0xf bank_mask:0xf// 000000004F1C: 0BA7A6FA FF015B0E
	v_mul_f32_dpp v212, v14, v212 row_newbcast:8 row_mask:0xf bank_mask:0xf// 000000004F24: 0BA9A8FA FF01580E
	v_mul_f32_dpp v213, v14, v213 row_newbcast:9 row_mask:0xf bank_mask:0xf// 000000004F2C: 0BABAAFA FF01590E
	v_mul_f32_dpp v214, v14, v214 row_newbcast:10 row_mask:0xf bank_mask:0xf// 000000004F34: 0BADACFA FF015A0E
	v_mul_f32_dpp v215, v14, v215 row_newbcast:11 row_mask:0xf bank_mask:0xf// 000000004F3C: 0BAFAEFA FF015B0E
	v_mul_f32_dpp v216, v14, v216 row_newbcast:12 row_mask:0xf bank_mask:0xf// 000000004F44: 0BB1B0FA FF015C0E
	v_mul_f32_dpp v217, v14, v217 row_newbcast:13 row_mask:0xf bank_mask:0xf// 000000004F4C: 0BB3B2FA FF015D0E
	v_mul_f32_dpp v218, v14, v218 row_newbcast:14 row_mask:0xf bank_mask:0xf// 000000004F54: 0BB5B4FA FF015E0E
	v_mul_f32_dpp v219, v14, v219 row_newbcast:15 row_mask:0xf bank_mask:0xf// 000000004F5C: 0BB7B6FA FF015F0E
	v_mul_f32_dpp v220, v14, v220 row_newbcast:12 row_mask:0xf bank_mask:0xf// 000000004F64: 0BB9B8FA FF015C0E
	v_mul_f32_dpp v221, v14, v221 row_newbcast:13 row_mask:0xf bank_mask:0xf// 000000004F6C: 0BBBBAFA FF015D0E
	v_mul_f32_dpp v222, v14, v222 row_newbcast:14 row_mask:0xf bank_mask:0xf// 000000004F74: 0BBDBCFA FF015E0E
	v_mul_f32_dpp v223, v14, v223 row_newbcast:15 row_mask:0xf bank_mask:0xf// 000000004F7C: 0BBFBEFA FF015F0E
	v_mfma_i32_16x16x32_i8 v[136:139], a[144:145], v[224:225], 0// 000000004F84: D3D70088 0A03C190
	v_mfma_i32_16x16x32_i8 v[136:139], a[146:147], v[226:227], v[136:139]// 000000004F8C: D3D70088 0E23C592
	buffer_load_dwordx4 a[16:19], v37, s[24:27], 0 offen       // 000000004F94: E05C1000 80861025
	v_mfma_i32_16x16x32_i8 v[136:139], a[148:149], v[228:229], v[136:139]// 000000004F9C: D3D70088 0E23C994
	v_mfma_i32_16x16x32_i8 v[136:139], a[150:151], v[230:231], v[136:139]// 000000004FA4: D3D70088 0E23CD96
	buffer_load_dword v32, s[20:23], 0 offen lds               // 000000004FAC: E0511000 80050020
	buffer_load_dword v32, s[20:23], 0 offen offset:256 lds    // 000000004FB4: E0511100 80050020
	s_add_u32 m0, 0x28a0, s51                                  // 000000004FBC: 807C33FF 000028A0
	v_mfma_i32_16x16x32_i8 v[136:139], a[152:153], v[232:233], v[136:139]// 000000004FC4: D3D70088 0E23D198
	v_mfma_i32_16x16x32_i8 v[136:139], a[154:155], v[234:235], v[136:139]// 000000004FCC: D3D70088 0E23D59A
	buffer_load_dwordx4 a[20:23], v37, s[24:27], 0 offen offset:1024// 000000004FD4: E05C1400 80861425
	v_mfma_i32_16x16x32_i8 v[136:139], a[156:157], v[236:237], v[136:139]// 000000004FDC: D3D70088 0E23D99C
	v_mfma_i32_16x16x32_i8 v[136:139], a[158:159], v[238:239], v[136:139]// 000000004FE4: D3D70088 0E23DD9E
	buffer_load_dword v33, s[20:23], 0 offen lds               // 000000004FEC: E0511000 80050021
	buffer_load_dword v33, s[20:23], 0 offen offset:256 lds    // 000000004FF4: E0511100 80050021
	s_add_u32 m0, 0x30c0, s51                                  // 000000004FFC: 807C33FF 000030C0
	v_mov_b32_e32 v48, 0x358637bd                              // 000000005004: 7E6002FF 358637BD
	v_mov_b32_e32 v49, 0x358637bd                              // 00000000500C: 7E6202FF 358637BD
	v_max3_f32 v48, |v192|, |v193|, v48                        // 000000005014: D1D30330 04C383C0
	v_max3_f32 v48, |v194|, |v195|, v48                        // 00000000501C: D1D30330 04C387C2
	v_max3_f32 v49, |v196|, |v197|, v49                        // 000000005024: D1D30331 04C78BC4
	v_max3_f32 v49, |v198|, |v199|, v49                        // 00000000502C: D1D30331 04C78FC6
	v_max3_f32 v48, |v200|, |v201|, v48                        // 000000005034: D1D30330 04C393C8
	v_max3_f32 v48, |v202|, |v203|, v48                        // 00000000503C: D1D30330 04C397CA
	v_max3_f32 v49, |v204|, |v205|, v49                        // 000000005044: D1D30331 04C79BCC
	v_max3_f32 v49, |v206|, |v207|, v49                        // 00000000504C: D1D30331 04C79FCE
	v_max3_f32 v48, |v208|, |v209|, v48                        // 000000005054: D1D30330 04C3A3D0
	v_max3_f32 v48, |v210|, |v211|, v48                        // 00000000505C: D1D30330 04C3A7D2
	v_max3_f32 v49, |v212|, |v213|, v49                        // 000000005064: D1D30331 04C7ABD4
	v_max3_f32 v49, |v214|, |v215|, v49                        // 00000000506C: D1D30331 04C7AFD6
	v_max3_f32 v48, |v216|, |v217|, v48                        // 000000005074: D1D30330 04C3B3D8
	v_max3_f32 v48, |v218|, |v219|, v48                        // 00000000507C: D1D30330 04C3B7DA
	v_max3_f32 v49, |v220|, |v221|, v49                        // 000000005084: D1D30331 04C7BBDC
	v_max3_f32 v49, |v222|, |v223|, v49                        // 00000000508C: D1D30331 04C7BFDE
	v_mfma_i32_16x16x32_i8 v[140:143], a[144:145], v[240:241], 0// 000000005094: D3D7008C 0A03E190
	ds_write_b64 v3, v[48:49]                                  // 00000000509C: D89A0000 00003003
	v_mfma_i32_16x16x32_i8 v[140:143], a[146:147], v[242:243], v[140:143]// 0000000050A4: D3D7008C 0E33E592
	buffer_load_dwordx4 a[24:27], v37, s[24:27], 0 offen offset:2048// 0000000050AC: E05C1800 80861825
	v_mfma_i32_16x16x32_i8 v[140:143], a[148:149], v[244:245], v[140:143]// 0000000050B4: D3D7008C 0E33E994
	v_mfma_i32_16x16x32_i8 v[140:143], a[150:151], v[246:247], v[140:143]// 0000000050BC: D3D7008C 0E33ED96
	buffer_load_dword v34, s[20:23], 0 offen lds               // 0000000050C4: E0511000 80050022
	buffer_load_dword v34, s[20:23], 0 offen offset:256 lds    // 0000000050CC: E0511100 80050022
	s_add_u32 m0, 0x38e0, s51                                  // 0000000050D4: 807C33FF 000038E0
	v_mfma_i32_16x16x32_i8 v[140:143], a[152:153], v[248:249], v[140:143]// 0000000050DC: D3D7008C 0E33F198
	v_mfma_i32_16x16x32_i8 v[140:143], a[154:155], v[250:251], v[140:143]// 0000000050E4: D3D7008C 0E33F59A
	buffer_load_dwordx4 a[28:31], v37, s[24:27], 0 offen offset:3072// 0000000050EC: E05C1C00 80861C25
	v_mfma_i32_16x16x32_i8 v[140:143], a[156:157], v[252:253], v[140:143]// 0000000050F4: D3D7008C 0E33F99C
	v_mfma_i32_16x16x32_i8 v[140:143], a[158:159], v[254:255], v[140:143]// 0000000050FC: D3D7008C 0E33FD9E
	buffer_load_dword v35, s[20:23], 0 offen lds               // 000000005104: E0511000 80050023
	buffer_load_dword v35, s[20:23], 0 offen offset:256 lds    // 00000000510C: E0511100 80050023
	s_add_u32 m0, 0, s50                                       // 000000005114: 807C3280
	s_waitcnt lgkmcnt(0)                                       // 000000005118: BF8CC07F
	s_barrier                                                  // 00000000511C: BF8A0000
	v_cvt_f32_i32_e32 v128, v128                               // 000000005120: 7F000B80
	v_cvt_f32_i32_e32 v129, v129                               // 000000005124: 7F020B81
	v_cvt_f32_i32_e32 v130, v130                               // 000000005128: 7F040B82
	v_cvt_f32_i32_e32 v131, v131                               // 00000000512C: 7F060B83
	v_cvt_f32_i32_e32 v132, v132                               // 000000005130: 7F080B84
	v_cvt_f32_i32_e32 v133, v133                               // 000000005134: 7F0A0B85
	v_cvt_f32_i32_e32 v134, v134                               // 000000005138: 7F0C0B86
	v_cvt_f32_i32_e32 v135, v135                               // 00000000513C: 7F0E0B87
	v_cvt_f32_i32_e32 v136, v136                               // 000000005140: 7F100B88
	v_cvt_f32_i32_e32 v137, v137                               // 000000005144: 7F120B89
	v_cvt_f32_i32_e32 v138, v138                               // 000000005148: 7F140B8A
	v_cvt_f32_i32_e32 v139, v139                               // 00000000514C: 7F160B8B
	v_cvt_f32_i32_e32 v140, v140                               // 000000005150: 7F180B8C
	v_cvt_f32_i32_e32 v141, v141                               // 000000005154: 7F1A0B8D
	v_cvt_f32_i32_e32 v142, v142                               // 000000005158: 7F1C0B8E
	v_cvt_f32_i32_e32 v143, v143                               // 00000000515C: 7F1E0B8F
	s_waitcnt vmcnt(40)                                        // 000000005160: BF8C8F78
	v_mfma_i32_16x16x32_i8 v[144:147], a[160:161], v[224:225], 0// 000000005164: D3D70090 0A03C1A0
	ds_read_b64 v[48:49], v4                                   // 00000000516C: D8EC0000 30000004
	ds_read_b64 v[50:51], v4 offset:128                        // 000000005174: D8EC0080 32000004
	v_mfma_i32_16x16x32_i8 v[144:147], a[162:163], v[226:227], v[144:147]// 00000000517C: D3D70090 0E43C5A2
	buffer_load_dwordx4 a[32:35], v38, s[24:27], 0 offen       // 000000005184: E05C1000 80862026
	v_mfma_i32_16x16x32_i8 v[144:147], a[164:165], v[228:229], v[144:147]// 00000000518C: D3D70090 0E43C9A4
	ds_read_b64 v[52:53], v4 offset:256                        // 000000005194: D8EC0100 34000004
	ds_read_b64 v[54:55], v4 offset:384                        // 00000000519C: D8EC0180 36000004
	v_mfma_i32_16x16x32_i8 v[144:147], a[166:167], v[230:231], v[144:147]// 0000000051A4: D3D70090 0E43CDA6
	v_mfma_i32_16x16x32_i8 v[144:147], a[168:169], v[232:233], v[144:147]// 0000000051AC: D3D70090 0E43D1A8
	ds_read_b64 v[56:57], v4 offset:512                        // 0000000051B4: D8EC0200 38000004
	ds_read_b64 v[58:59], v4 offset:640                        // 0000000051BC: D8EC0280 3A000004
	v_mfma_i32_16x16x32_i8 v[144:147], a[170:171], v[234:235], v[144:147]// 0000000051C4: D3D70090 0E43D5AA
	buffer_load_dwordx4 a[36:39], v38, s[24:27], 0 offen offset:1024// 0000000051CC: E05C1400 80862426
	v_mfma_i32_16x16x32_i8 v[144:147], a[172:173], v[236:237], v[144:147]// 0000000051D4: D3D70090 0E43D9AC
	ds_read_b64 v[60:61], v4 offset:768                        // 0000000051DC: D8EC0300 3C000004
	ds_read_b64 v[62:63], v4 offset:896                        // 0000000051E4: D8EC0380 3E000004
	v_mfma_i32_16x16x32_i8 v[144:147], a[174:175], v[238:239], v[144:147]// 0000000051EC: D3D70090 0E43DDAE
	v_mov_b32_e32 v8, v27                                      // 0000000051F4: 7E10031B
	v_mov_b32_e32 v9, v27                                      // 0000000051F8: 7E12031B
	v_mov_b32_e32 v27, v26                                     // 0000000051FC: 7E36031A
	v_pk_fma_f32 v[64:65], v[26:27], v[128:129], v[64:65]      // 000000005200: D3B04040 1D03011A
	v_pk_fma_f32 v[66:67], v[26:27], v[130:131], v[66:67]      // 000000005208: D3B04042 1D0B051A
	v_pk_fma_f32 v[68:69], v[8:9], v[132:133], v[68:69]        // 000000005210: D3B04044 1D130908
	v_pk_fma_f32 v[70:71], v[8:9], v[134:135], v[70:71]        // 000000005218: D3B04046 1D1B0D08
	v_pk_fma_f32 v[72:73], v[26:27], v[136:137], v[72:73]      // 000000005220: D3B04048 1D23111A
	v_pk_fma_f32 v[74:75], v[26:27], v[138:139], v[74:75]      // 000000005228: D3B0404A 1D2B151A
	v_pk_fma_f32 v[76:77], v[8:9], v[140:141], v[76:77]        // 000000005230: D3B0404C 1D331908
	v_pk_fma_f32 v[78:79], v[8:9], v[142:143], v[78:79]        // 000000005238: D3B0404E 1D3B1D08
	s_waitcnt lgkmcnt(0)                                       // 000000005240: BF8CC07F
	v_mov_b32_e32 v22, 0x358637bd                              // 000000005244: 7E2C02FF 358637BD
	v_mov_b32_e32 v23, 0x358637bd                              // 00000000524C: 7E2E02FF 358637BD
	v_max3_f32 v22, |v48|, |v50|, v22                          // 000000005254: D1D30316 045A6530
	v_max3_f32 v23, |v49|, |v51|, v23                          // 00000000525C: D1D30317 045E6731
	v_max3_f32 v22, |v52|, |v54|, v22                          // 000000005264: D1D30316 045A6D34
	v_max3_f32 v23, |v53|, |v55|, v23                          // 00000000526C: D1D30317 045E6F35
	v_max3_f32 v22, |v56|, |v58|, v22                          // 000000005274: D1D30316 045A7538
	v_max3_f32 v23, |v57|, |v59|, v23                          // 00000000527C: D1D30317 045E7739
	v_max3_f32 v22, |v60|, |v62|, v22                          // 000000005284: D1D30316 045A7D3C
	v_max3_f32 v23, |v61|, |v63|, v23                          // 00000000528C: D1D30317 045E7F3D
	v_mfma_i32_16x16x32_i8 v[148:151], a[160:161], v[240:241], 0// 000000005294: D3D70094 0A03E1A0
	ds_read_b64 v[48:49], v4 offset:1024                       // 00000000529C: D8EC0400 30000004
	ds_read_b64 v[50:51], v4 offset:1152                       // 0000000052A4: D8EC0480 32000004
	v_mfma_i32_16x16x32_i8 v[148:151], a[162:163], v[242:243], v[148:151]// 0000000052AC: D3D70094 0E53E5A2
	buffer_load_dwordx4 a[40:43], v38, s[24:27], 0 offen offset:2048// 0000000052B4: E05C1800 80862826
	v_mfma_i32_16x16x32_i8 v[148:151], a[164:165], v[244:245], v[148:151]// 0000000052BC: D3D70094 0E53E9A4
	ds_read_b64 v[52:53], v4 offset:1280                       // 0000000052C4: D8EC0500 34000004
	ds_read_b64 v[54:55], v4 offset:1408                       // 0000000052CC: D8EC0580 36000004
	v_mfma_i32_16x16x32_i8 v[148:151], a[166:167], v[246:247], v[148:151]// 0000000052D4: D3D70094 0E53EDA6
	v_mfma_i32_16x16x32_i8 v[148:151], a[168:169], v[248:249], v[148:151]// 0000000052DC: D3D70094 0E53F1A8
	ds_read_b64 v[56:57], v4 offset:1536                       // 0000000052E4: D8EC0600 38000004
	ds_read_b64 v[58:59], v4 offset:1664                       // 0000000052EC: D8EC0680 3A000004
	v_mfma_i32_16x16x32_i8 v[148:151], a[170:171], v[250:251], v[148:151]// 0000000052F4: D3D70094 0E53F5AA
	buffer_load_dwordx4 a[44:47], v38, s[24:27], 0 offen offset:3072// 0000000052FC: E05C1C00 80862C26
	v_mfma_i32_16x16x32_i8 v[148:151], a[172:173], v[252:253], v[148:151]// 000000005304: D3D70094 0E53F9AC
	ds_read_b64 v[60:61], v4 offset:1792                       // 00000000530C: D8EC0700 3C000004
	ds_read_b64 v[62:63], v4 offset:1920                       // 000000005314: D8EC0780 3E000004
	v_mfma_i32_16x16x32_i8 v[148:151], a[174:175], v[254:255], v[148:151]// 00000000531C: D3D70094 0E53FDAE
	v_mfma_i32_16x16x32_i8 v[152:155], a[176:177], v[224:225], 0// 000000005324: D3D70098 0A03C1B0
	v_mfma_i32_16x16x32_i8 v[152:155], a[178:179], v[226:227], v[152:155]// 00000000532C: D3D70098 0E63C5B2
	buffer_load_dwordx4 a[48:51], v39, s[24:27], 0 offen       // 000000005334: E05C1000 80863027
	v_mfma_i32_16x16x32_i8 v[152:155], a[180:181], v[228:229], v[152:155]// 00000000533C: D3D70098 0E63C9B4
	v_mfma_i32_16x16x32_i8 v[152:155], a[182:183], v[230:231], v[152:155]// 000000005344: D3D70098 0E63CDB6
	v_mfma_i32_16x16x32_i8 v[152:155], a[184:185], v[232:233], v[152:155]// 00000000534C: D3D70098 0E63D1B8
	v_mfma_i32_16x16x32_i8 v[152:155], a[186:187], v[234:235], v[152:155]// 000000005354: D3D70098 0E63D5BA
	buffer_load_dwordx4 a[52:55], v39, s[24:27], 0 offen offset:1024// 00000000535C: E05C1400 80863427
	v_mfma_i32_16x16x32_i8 v[152:155], a[188:189], v[236:237], v[152:155]// 000000005364: D3D70098 0E63D9BC
	v_mfma_i32_16x16x32_i8 v[152:155], a[190:191], v[238:239], v[152:155]// 00000000536C: D3D70098 0E63DDBE
	s_waitcnt lgkmcnt(0)                                       // 000000005374: BF8CC07F
	v_max3_f32 v22, |v48|, |v50|, v22                          // 000000005378: D1D30316 045A6530
	v_max3_f32 v23, |v49|, |v51|, v23                          // 000000005380: D1D30317 045E6731
	v_max3_f32 v22, |v52|, |v54|, v22                          // 000000005388: D1D30316 045A6D34
	v_max3_f32 v23, |v53|, |v55|, v23                          // 000000005390: D1D30317 045E6F35
	v_max3_f32 v22, |v56|, |v58|, v22                          // 000000005398: D1D30316 045A7538
	v_max3_f32 v23, |v57|, |v59|, v23                          // 0000000053A0: D1D30317 045E7739
	v_max3_f32 v22, |v60|, |v62|, v22                          // 0000000053A8: D1D30316 045A7D3C
	v_max3_f32 v23, |v61|, |v63|, v23                          // 0000000053B0: D1D30317 045E7F3D
	v_rcp_f32_e32 v22, v22                                     // 0000000053B8: 7E2C4516
	v_rcp_f32_e32 v23, v23                                     // 0000000053BC: 7E2E4517
	s_nop 1                                                    // 0000000053C0: BF800001
	v_mul_f32_e32 v22, 0x42fe0000, v22                         // 0000000053C4: 0A2C2CFF 42FE0000
	v_mul_f32_e32 v23, 0x42fe0000, v23                         // 0000000053CC: 0A2E2EFF 42FE0000
	v_rcp_f32_e32 v24, v22                                     // 0000000053D4: 7E304516
	v_rcp_f32_e32 v25, v23                                     // 0000000053D8: 7E324517
	v_mfma_i32_16x16x32_i8 v[156:159], a[176:177], v[240:241], 0// 0000000053DC: D3D7009C 0A03E1B0
	v_mfma_i32_16x16x32_i8 v[156:159], a[178:179], v[242:243], v[156:159]// 0000000053E4: D3D7009C 0E73E5B2
	buffer_load_dwordx4 a[56:59], v39, s[24:27], 0 offen offset:2048// 0000000053EC: E05C1800 80863827
	v_mfma_i32_16x16x32_i8 v[156:159], a[180:181], v[244:245], v[156:159]// 0000000053F4: D3D7009C 0E73E9B4
	v_mfma_i32_16x16x32_i8 v[156:159], a[182:183], v[246:247], v[156:159]// 0000000053FC: D3D7009C 0E73EDB6
	v_mfma_i32_16x16x32_i8 v[156:159], a[184:185], v[248:249], v[156:159]// 000000005404: D3D7009C 0E73F1B8
	v_mfma_i32_16x16x32_i8 v[156:159], a[186:187], v[250:251], v[156:159]// 00000000540C: D3D7009C 0E73F5BA
	buffer_load_dwordx4 a[60:63], v39, s[24:27], 0 offen offset:3072// 000000005414: E05C1C00 80863C27
	v_mfma_i32_16x16x32_i8 v[156:159], a[188:189], v[252:253], v[156:159]// 00000000541C: D3D7009C 0E73F9BC
	v_mfma_i32_16x16x32_i8 v[156:159], a[190:191], v[254:255], v[156:159]// 000000005424: D3D7009C 0E73FDBE
	v_mul_f32_e32 v192, v22, v192                              // 00000000542C: 0B818116
	v_mul_f32_e32 v193, v22, v193                              // 000000005430: 0B838316
	v_mul_f32_e32 v194, v22, v194                              // 000000005434: 0B858516
	v_mul_f32_e32 v195, v22, v195                              // 000000005438: 0B878716
	v_cvt_i32_f32_e32 v192, v192                               // 00000000543C: 7F8011C0
	v_cvt_i32_f32_e32 v193, v193                               // 000000005440: 7F8211C1
	v_cvt_i32_f32_e32 v194, v194                               // 000000005444: 7F8411C2
	v_cvt_i32_f32_e32 v195, v195                               // 000000005448: 7F8611C3
	v_perm_b32 v192, v193, v192, s53                           // 00000000544C: D1ED00C0 00D781C1
	v_perm_b32 v192, v194, v192, s54                           // 000000005454: D1ED00C0 00DB81C2
	v_perm_b32 v192, v195, v192, s55                           // 00000000545C: D1ED00C0 00DF81C3
	v_mul_f32_e32 v196, v23, v196                              // 000000005464: 0B898917
	v_mul_f32_e32 v197, v23, v197                              // 000000005468: 0B8B8B17
	v_mul_f32_e32 v198, v23, v198                              // 00000000546C: 0B8D8D17
	v_mul_f32_e32 v199, v23, v199                              // 000000005470: 0B8F8F17
	v_cvt_i32_f32_e32 v196, v196                               // 000000005474: 7F8811C4
	v_cvt_i32_f32_e32 v197, v197                               // 000000005478: 7F8A11C5
	v_cvt_i32_f32_e32 v198, v198                               // 00000000547C: 7F8C11C6
	v_cvt_i32_f32_e32 v199, v199                               // 000000005480: 7F8E11C7
	v_perm_b32 v193, v197, v196, s53                           // 000000005484: D1ED00C1 00D789C5
	v_perm_b32 v193, v198, v193, s54                           // 00000000548C: D1ED00C1 00DB83C6
	v_perm_b32 v193, v199, v193, s55                           // 000000005494: D1ED00C1 00DF83C7
	s_waitcnt vmcnt(40)                                        // 00000000549C: BF8C8F78
	v_mfma_i32_16x16x32_i8 v[160:163], a[192:193], v[224:225], 0// 0000000054A0: D3D700A0 0A03C1C0
	v_mfma_i32_16x16x32_i8 v[160:163], a[194:195], v[226:227], v[160:163]// 0000000054A8: D3D700A0 0E83C5C2
	buffer_load_dwordx4 a[64:67], v40, s[24:27], 0 offen       // 0000000054B0: E05C1000 80864028
	v_mfma_i32_16x16x32_i8 v[160:163], a[196:197], v[228:229], v[160:163]// 0000000054B8: D3D700A0 0E83C9C4
	v_mfma_i32_16x16x32_i8 v[160:163], a[198:199], v[230:231], v[160:163]// 0000000054C0: D3D700A0 0E83CDC6
	s_add_u32 s60, 0x300, s80                                  // 0000000054C8: 803C50FF 00000300
	s_cmp_lt_u32 s60, s81                                      // 0000000054D0: BF0A513C
	s_cselect_b32 s57, s57, 0                                  // 0000000054D4: 85398039
	s_cselect_b32 s84, s84, 0                                  // 0000000054D8: 85548054
	v_mfma_i32_16x16x32_i8 v[160:163], a[200:201], v[232:233], v[160:163]// 0000000054DC: D3D700A0 0E83D1C8
	v_mfma_i32_16x16x32_i8 v[160:163], a[202:203], v[234:235], v[160:163]// 0000000054E4: D3D700A0 0E83D5CA
	buffer_load_dwordx4 a[68:71], v40, s[24:27], 0 offen offset:1024// 0000000054EC: E05C1400 80864428
	v_mfma_i32_16x16x32_i8 v[160:163], a[204:205], v[236:237], v[160:163]// 0000000054F4: D3D700A0 0E83D9CC
	v_mfma_i32_16x16x32_i8 v[160:163], a[206:207], v[238:239], v[160:163]// 0000000054FC: D3D700A0 0E83DDCE
	s_add_u32 s60, 0x200, s80                                  // 000000005504: 803C50FF 00000200
	s_cmp_lt_u32 s60, s81                                      // 00000000550C: BF0A513C
	s_cselect_b32 s58, s58, 0                                  // 000000005510: 853A803A
	v_mul_f32_e32 v200, v22, v200                              // 000000005514: 0B919116
	v_mul_f32_e32 v201, v22, v201                              // 000000005518: 0B939316
	v_mul_f32_e32 v202, v22, v202                              // 00000000551C: 0B959516
	v_mul_f32_e32 v203, v22, v203                              // 000000005520: 0B979716
	v_cvt_i32_f32_e32 v200, v200                               // 000000005524: 7F9011C8
	v_cvt_i32_f32_e32 v201, v201                               // 000000005528: 7F9211C9
	v_cvt_i32_f32_e32 v202, v202                               // 00000000552C: 7F9411CA
	v_cvt_i32_f32_e32 v203, v203                               // 000000005530: 7F9611CB
	v_perm_b32 v194, v201, v200, s53                           // 000000005534: D1ED00C2 00D791C9
	v_perm_b32 v194, v202, v194, s54                           // 00000000553C: D1ED00C2 00DB85CA
	v_perm_b32 v194, v203, v194, s55                           // 000000005544: D1ED00C2 00DF85CB
	v_mul_f32_e32 v204, v23, v204                              // 00000000554C: 0B999917
	v_mul_f32_e32 v205, v23, v205                              // 000000005550: 0B9B9B17
	v_mul_f32_e32 v206, v23, v206                              // 000000005554: 0B9D9D17
	v_mul_f32_e32 v207, v23, v207                              // 000000005558: 0B9F9F17
	v_cvt_i32_f32_e32 v204, v204                               // 00000000555C: 7F9811CC
	v_cvt_i32_f32_e32 v205, v205                               // 000000005560: 7F9A11CD
	v_cvt_i32_f32_e32 v206, v206                               // 000000005564: 7F9C11CE
	v_cvt_i32_f32_e32 v207, v207                               // 000000005568: 7F9E11CF
	v_perm_b32 v195, v205, v204, s53                           // 00000000556C: D1ED00C3 00D799CD
	v_perm_b32 v195, v206, v195, s54                           // 000000005574: D1ED00C3 00DB87CE
	v_perm_b32 v195, v207, v195, s55                           // 00000000557C: D1ED00C3 00DF87CF
	v_mfma_i32_16x16x32_i8 v[164:167], a[192:193], v[240:241], 0// 000000005584: D3D700A4 0A03E1C0
	ds_write_b32 v12, v192 offset:2048                         // 00000000558C: D81A0800 0000C00C
	v_mfma_i32_16x16x32_i8 v[164:167], a[194:195], v[242:243], v[164:167]// 000000005594: D3D700A4 0E93E5C2
	buffer_load_dwordx4 a[72:75], v40, s[24:27], 0 offen offset:2048// 00000000559C: E05C1800 80864828
	v_mfma_i32_16x16x32_i8 v[164:167], a[196:197], v[244:245], v[164:167]// 0000000055A4: D3D700A4 0E93E9C4
	ds_write_b32 v12, v193 offset:6144                         // 0000000055AC: D81A1800 0000C10C
	v_mfma_i32_16x16x32_i8 v[164:167], a[198:199], v[246:247], v[164:167]// 0000000055B4: D3D700A4 0E93EDC6
	s_add_u32 s20, s57, s20                                    // 0000000055BC: 80141439
	s_addc_u32 s21, 0, s21                                     // 0000000055C0: 82151580
	v_mfma_i32_16x16x32_i8 v[164:167], a[200:201], v[248:249], v[164:167]// 0000000055C4: D3D700A4 0E93F1C8
	ds_write_b32 v12, v194 offset:3072                         // 0000000055CC: D81A0C00 0000C20C
	v_mfma_i32_16x16x32_i8 v[164:167], a[202:203], v[250:251], v[164:167]// 0000000055D4: D3D700A4 0E93F5CA
	buffer_load_dwordx4 a[76:79], v40, s[24:27], 0 offen offset:3072// 0000000055DC: E05C1C00 80864C28
	v_mfma_i32_16x16x32_i8 v[164:167], a[204:205], v[252:253], v[164:167]// 0000000055E4: D3D700A4 0E93F9CC
	ds_write_b32 v12, v195 offset:7168                         // 0000000055EC: D81A1C00 0000C30C
	v_mfma_i32_16x16x32_i8 v[164:167], a[206:207], v[254:255], v[164:167]// 0000000055F4: D3D700A4 0E93FDCE
	v_mul_f32_e32 v208, v22, v208                              // 0000000055FC: 0BA1A116
	v_mul_f32_e32 v209, v22, v209                              // 000000005600: 0BA3A316
	v_mul_f32_e32 v210, v22, v210                              // 000000005604: 0BA5A516
	v_mul_f32_e32 v211, v22, v211                              // 000000005608: 0BA7A716
	v_cvt_i32_f32_e32 v208, v208                               // 00000000560C: 7FA011D0
	v_cvt_i32_f32_e32 v209, v209                               // 000000005610: 7FA211D1
	v_cvt_i32_f32_e32 v210, v210                               // 000000005614: 7FA411D2
	v_cvt_i32_f32_e32 v211, v211                               // 000000005618: 7FA611D3
	v_perm_b32 v196, v209, v208, s53                           // 00000000561C: D1ED00C4 00D7A1D1
	v_perm_b32 v196, v210, v196, s54                           // 000000005624: D1ED00C4 00DB89D2
	v_perm_b32 v196, v211, v196, s55                           // 00000000562C: D1ED00C4 00DF89D3
	v_mul_f32_e32 v212, v23, v212                              // 000000005634: 0BA9A917
	v_mul_f32_e32 v213, v23, v213                              // 000000005638: 0BABAB17
	v_mul_f32_e32 v214, v23, v214                              // 00000000563C: 0BADAD17
	v_mul_f32_e32 v215, v23, v215                              // 000000005640: 0BAFAF17
	v_cvt_i32_f32_e32 v212, v212                               // 000000005644: 7FA811D4
	v_cvt_i32_f32_e32 v213, v213                               // 000000005648: 7FAA11D5
	v_cvt_i32_f32_e32 v214, v214                               // 00000000564C: 7FAC11D6
	v_cvt_i32_f32_e32 v215, v215                               // 000000005650: 7FAE11D7
	v_perm_b32 v197, v213, v212, s53                           // 000000005654: D1ED00C5 00D7A9D5
	v_perm_b32 v197, v214, v197, s54                           // 00000000565C: D1ED00C5 00DB8BD6
	v_perm_b32 v197, v215, v197, s55                           // 000000005664: D1ED00C5 00DF8BD7
	v_mfma_i32_16x16x32_i8 v[168:171], a[208:209], v[224:225], 0// 00000000566C: D3D700A8 0A03C1D0
	v_mfma_i32_16x16x32_i8 v[168:171], a[210:211], v[226:227], v[168:171]// 000000005674: D3D700A8 0EA3C5D2
	buffer_load_dwordx4 a[80:83], v41, s[24:27], 0 offen       // 00000000567C: E05C1000 80865029
	v_mfma_i32_16x16x32_i8 v[168:171], a[212:213], v[228:229], v[168:171]// 000000005684: D3D700A8 0EA3C9D4
	v_mfma_i32_16x16x32_i8 v[168:171], a[214:215], v[230:231], v[168:171]// 00000000568C: D3D700A8 0EA3CDD6
	v_mfma_i32_16x16x32_i8 v[168:171], a[216:217], v[232:233], v[168:171]// 000000005694: D3D700A8 0EA3D1D8
	v_mfma_i32_16x16x32_i8 v[168:171], a[218:219], v[234:235], v[168:171]// 00000000569C: D3D700A8 0EA3D5DA
	buffer_load_dwordx4 a[84:87], v41, s[24:27], 0 offen offset:1024// 0000000056A4: E05C1400 80865429
	v_mfma_i32_16x16x32_i8 v[168:171], a[220:221], v[236:237], v[168:171]// 0000000056AC: D3D700A8 0EA3D9DC
	v_mfma_i32_16x16x32_i8 v[168:171], a[222:223], v[238:239], v[168:171]// 0000000056B4: D3D700A8 0EA3DDDE
	v_mul_f32_e32 v216, v22, v216                              // 0000000056BC: 0BB1B116
	v_mul_f32_e32 v217, v22, v217                              // 0000000056C0: 0BB3B316
	v_mul_f32_e32 v218, v22, v218                              // 0000000056C4: 0BB5B516
	v_mul_f32_e32 v219, v22, v219                              // 0000000056C8: 0BB7B716
	v_cvt_i32_f32_e32 v216, v216                               // 0000000056CC: 7FB011D8
	v_cvt_i32_f32_e32 v217, v217                               // 0000000056D0: 7FB211D9
	v_cvt_i32_f32_e32 v218, v218                               // 0000000056D4: 7FB411DA
	v_cvt_i32_f32_e32 v219, v219                               // 0000000056D8: 7FB611DB
	v_perm_b32 v198, v217, v216, s53                           // 0000000056DC: D1ED00C6 00D7B1D9
	v_perm_b32 v198, v218, v198, s54                           // 0000000056E4: D1ED00C6 00DB8DDA
	v_perm_b32 v198, v219, v198, s55                           // 0000000056EC: D1ED00C6 00DF8DDB
	v_mul_f32_e32 v220, v23, v220                              // 0000000056F4: 0BB9B917
	v_mul_f32_e32 v221, v23, v221                              // 0000000056F8: 0BBBBB17
	v_mul_f32_e32 v222, v23, v222                              // 0000000056FC: 0BBDBD17
	v_mul_f32_e32 v223, v23, v223                              // 000000005700: 0BBFBF17
	v_cvt_i32_f32_e32 v220, v220                               // 000000005704: 7FB811DC
	v_cvt_i32_f32_e32 v221, v221                               // 000000005708: 7FBA11DD
	v_cvt_i32_f32_e32 v222, v222                               // 00000000570C: 7FBC11DE
	v_cvt_i32_f32_e32 v223, v223                               // 000000005710: 7FBE11DF
	v_perm_b32 v199, v221, v220, s53                           // 000000005714: D1ED00C7 00D7B9DD
	v_perm_b32 v199, v222, v199, s54                           // 00000000571C: D1ED00C7 00DB8FDE
	v_perm_b32 v199, v223, v199, s55                           // 000000005724: D1ED00C7 00DF8FDF
	v_mfma_i32_16x16x32_i8 v[172:175], a[208:209], v[240:241], 0// 00000000572C: D3D700AC 0A03E1D0
	ds_write_b32 v12, v196 offset:4096                         // 000000005734: D81A1000 0000C40C
	v_mfma_i32_16x16x32_i8 v[172:175], a[210:211], v[242:243], v[172:175]// 00000000573C: D3D700AC 0EB3E5D2
	buffer_load_dwordx4 a[88:91], v41, s[24:27], 0 offen offset:2048// 000000005744: E05C1800 80865829
	v_mfma_i32_16x16x32_i8 v[172:175], a[212:213], v[244:245], v[172:175]// 00000000574C: D3D700AC 0EB3E9D4
	ds_write_b32 v12, v197 offset:8192                         // 000000005754: D81A2000 0000C50C
	v_mfma_i32_16x16x32_i8 v[172:175], a[214:215], v[246:247], v[172:175]// 00000000575C: D3D700AC 0EB3EDD6
	v_mfma_i32_16x16x32_i8 v[172:175], a[216:217], v[248:249], v[172:175]// 000000005764: D3D700AC 0EB3F1D8
	ds_write_b32 v12, v198 offset:5120                         // 00000000576C: D81A1400 0000C60C
	v_mfma_i32_16x16x32_i8 v[172:175], a[218:219], v[250:251], v[172:175]// 000000005774: D3D700AC 0EB3F5DA
	buffer_load_dwordx4 a[92:95], v41, s[24:27], 0 offen offset:3072// 00000000577C: E05C1C00 80865C29
	v_mfma_i32_16x16x32_i8 v[172:175], a[220:221], v[252:253], v[172:175]// 000000005784: D3D700AC 0EB3F9DC
	ds_write_b32 v12, v199 offset:9216                         // 00000000578C: D81A2400 0000C70C
	v_mfma_i32_16x16x32_i8 v[172:175], a[222:223], v[254:255], v[172:175]// 000000005794: D3D700AC 0EB3FDDE
	v_cvt_f32_i32_e32 v144, v144                               // 00000000579C: 7F200B90
	v_cvt_f32_i32_e32 v145, v145                               // 0000000057A0: 7F220B91
	v_cvt_f32_i32_e32 v146, v146                               // 0000000057A4: 7F240B92
	v_cvt_f32_i32_e32 v147, v147                               // 0000000057A8: 7F260B93
	v_cvt_f32_i32_e32 v148, v148                               // 0000000057AC: 7F280B94
	v_cvt_f32_i32_e32 v149, v149                               // 0000000057B0: 7F2A0B95
	v_cvt_f32_i32_e32 v150, v150                               // 0000000057B4: 7F2C0B96
	v_cvt_f32_i32_e32 v151, v151                               // 0000000057B8: 7F2E0B97
	v_cvt_f32_i32_e32 v152, v152                               // 0000000057BC: 7F300B98
	v_cvt_f32_i32_e32 v153, v153                               // 0000000057C0: 7F320B99
	v_cvt_f32_i32_e32 v154, v154                               // 0000000057C4: 7F340B9A
	v_cvt_f32_i32_e32 v155, v155                               // 0000000057C8: 7F360B9B
	v_cvt_f32_i32_e32 v156, v156                               // 0000000057CC: 7F380B9C
	v_cvt_f32_i32_e32 v157, v157                               // 0000000057D0: 7F3A0B9D
	v_cvt_f32_i32_e32 v158, v158                               // 0000000057D4: 7F3C0B9E
	v_cvt_f32_i32_e32 v159, v159                               // 0000000057D8: 7F3E0B9F
	s_waitcnt lgkmcnt(0)                                       // 0000000057DC: BF8CC07F
	s_barrier                                                  // 0000000057E0: BF8A0000
	s_waitcnt vmcnt(40)                                        // 0000000057E4: BF8C8F78
	v_mfma_i32_16x16x32_i8 v[176:179], a[224:225], v[224:225], 0// 0000000057E8: D3D700B0 0A03C1E0
	ds_read_b64 v[192:193], v13 offset:2048                    // 0000000057F0: D8EC0800 C000000D
	ds_read_b64 v[194:195], v13 offset:2176                    // 0000000057F8: D8EC0880 C200000D
	v_mfma_i32_16x16x32_i8 v[176:179], a[226:227], v[226:227], v[176:179]// 000000005800: D3D700B0 0EC3C5E2
	buffer_load_dwordx4 a[96:99], v42, s[24:27], 0 offen       // 000000005808: E05C1000 8086602A
	v_mfma_i32_16x16x32_i8 v[176:179], a[228:229], v[228:229], v[176:179]// 000000005810: D3D700B0 0EC3C9E4
	ds_read_b64 v[196:197], v13 offset:3072                    // 000000005818: D8EC0C00 C400000D
	ds_read_b64 v[198:199], v13 offset:3200                    // 000000005820: D8EC0C80 C600000D
	v_mfma_i32_16x16x32_i8 v[176:179], a[230:231], v[230:231], v[176:179]// 000000005828: D3D700B0 0EC3CDE6
	v_mfma_i32_16x16x32_i8 v[176:179], a[232:233], v[232:233], v[176:179]// 000000005830: D3D700B0 0EC3D1E8
	ds_read_b64 v[200:201], v13 offset:4096                    // 000000005838: D8EC1000 C800000D
	ds_read_b64 v[202:203], v13 offset:4224                    // 000000005840: D8EC1080 CA00000D
	v_mfma_i32_16x16x32_i8 v[176:179], a[234:235], v[234:235], v[176:179]// 000000005848: D3D700B0 0EC3D5EA
	buffer_load_dwordx4 a[100:103], v42, s[24:27], 0 offen offset:1024// 000000005850: E05C1400 8086642A
	v_mfma_i32_16x16x32_i8 v[176:179], a[236:237], v[236:237], v[176:179]// 000000005858: D3D700B0 0EC3D9EC
	ds_read_b64 v[204:205], v13 offset:5120                    // 000000005860: D8EC1400 CC00000D
	ds_read_b64 v[206:207], v13 offset:5248                    // 000000005868: D8EC1480 CE00000D
	v_mfma_i32_16x16x32_i8 v[176:179], a[238:239], v[238:239], v[176:179]// 000000005870: D3D700B0 0EC3DDEE
	v_cvt_f32_i32_e32 v160, v160                               // 000000005878: 7F400BA0
	v_cvt_f32_i32_e32 v161, v161                               // 00000000587C: 7F420BA1
	v_cvt_f32_i32_e32 v162, v162                               // 000000005880: 7F440BA2
	v_cvt_f32_i32_e32 v163, v163                               // 000000005884: 7F460BA3
	v_cvt_f32_i32_e32 v164, v164                               // 000000005888: 7F480BA4
	v_cvt_f32_i32_e32 v165, v165                               // 00000000588C: 7F4A0BA5
	v_cvt_f32_i32_e32 v166, v166                               // 000000005890: 7F4C0BA6
	v_cvt_f32_i32_e32 v167, v167                               // 000000005894: 7F4E0BA7
	v_pk_fma_f32 v[80:81], v[26:27], v[144:145], v[80:81]      // 000000005898: D3B04050 1D43211A
	v_pk_fma_f32 v[82:83], v[26:27], v[146:147], v[82:83]      // 0000000058A0: D3B04052 1D4B251A
	v_pk_fma_f32 v[84:85], v[8:9], v[148:149], v[84:85]        // 0000000058A8: D3B04054 1D532908
	v_pk_fma_f32 v[86:87], v[8:9], v[150:151], v[86:87]        // 0000000058B0: D3B04056 1D5B2D08
	v_pk_fma_f32 v[88:89], v[26:27], v[152:153], v[88:89]      // 0000000058B8: D3B04058 1D63311A
	v_pk_fma_f32 v[90:91], v[26:27], v[154:155], v[90:91]      // 0000000058C0: D3B0405A 1D6B351A
	v_pk_fma_f32 v[92:93], v[8:9], v[156:157], v[92:93]        // 0000000058C8: D3B0405C 1D733908
	v_pk_fma_f32 v[94:95], v[8:9], v[158:159], v[94:95]        // 0000000058D0: D3B0405E 1D7B3D08
	v_mfma_i32_16x16x32_i8 v[180:183], a[224:225], v[240:241], 0// 0000000058D8: D3D700B4 0A03E1E0
	ds_read_b64 v[208:209], v13 offset:6144                    // 0000000058E0: D8EC1800 D000000D
	ds_read_b64 v[210:211], v13 offset:6272                    // 0000000058E8: D8EC1880 D200000D
	v_mfma_i32_16x16x32_i8 v[180:183], a[226:227], v[242:243], v[180:183]// 0000000058F0: D3D700B4 0ED3E5E2
	buffer_load_dwordx4 a[104:107], v42, s[24:27], 0 offen offset:2048// 0000000058F8: E05C1800 8086682A
	v_mfma_i32_16x16x32_i8 v[180:183], a[228:229], v[244:245], v[180:183]// 000000005900: D3D700B4 0ED3E9E4
	ds_read_b64 v[212:213], v13 offset:7168                    // 000000005908: D8EC1C00 D400000D
	ds_read_b64 v[214:215], v13 offset:7296                    // 000000005910: D8EC1C80 D600000D
	v_mfma_i32_16x16x32_i8 v[180:183], a[230:231], v[246:247], v[180:183]// 000000005918: D3D700B4 0ED3EDE6
	v_mfma_i32_16x16x32_i8 v[180:183], a[232:233], v[248:249], v[180:183]// 000000005920: D3D700B4 0ED3F1E8
	ds_read_b64 v[216:217], v13 offset:8192                    // 000000005928: D8EC2000 D800000D
	ds_read_b64 v[218:219], v13 offset:8320                    // 000000005930: D8EC2080 DA00000D
	v_mfma_i32_16x16x32_i8 v[180:183], a[234:235], v[250:251], v[180:183]// 000000005938: D3D700B4 0ED3F5EA
	buffer_load_dwordx4 a[108:111], v42, s[24:27], 0 offen offset:3072// 000000005940: E05C1C00 80866C2A
	v_mfma_i32_16x16x32_i8 v[180:183], a[236:237], v[252:253], v[180:183]// 000000005948: D3D700B4 0ED3F9EC
	ds_read_b64 v[220:221], v13 offset:9216                    // 000000005950: D8EC2400 DC00000D
	ds_read_b64 v[222:223], v13 offset:9344                    // 000000005958: D8EC2480 DE00000D
	v_mfma_i32_16x16x32_i8 v[180:183], a[238:239], v[254:255], v[180:183]// 000000005960: D3D700B4 0ED3FDEE
	v_cvt_f32_i32_e32 v168, v168                               // 000000005968: 7F500BA8
	v_cvt_f32_i32_e32 v169, v169                               // 00000000596C: 7F520BA9
	v_cvt_f32_i32_e32 v170, v170                               // 000000005970: 7F540BAA
	v_cvt_f32_i32_e32 v171, v171                               // 000000005974: 7F560BAB
	v_cvt_f32_i32_e32 v172, v172                               // 000000005978: 7F580BAC
	v_cvt_f32_i32_e32 v173, v173                               // 00000000597C: 7F5A0BAD
	v_cvt_f32_i32_e32 v174, v174                               // 000000005980: 7F5C0BAE
	v_cvt_f32_i32_e32 v175, v175                               // 000000005984: 7F5E0BAF
	v_pk_fma_f32 v[96:97], v[26:27], v[160:161], v[96:97]      // 000000005988: D3B04060 1D83411A
	v_pk_fma_f32 v[98:99], v[26:27], v[162:163], v[98:99]      // 000000005990: D3B04062 1D8B451A
	v_pk_fma_f32 v[100:101], v[8:9], v[164:165], v[100:101]    // 000000005998: D3B04064 1D934908
	v_pk_fma_f32 v[102:103], v[8:9], v[166:167], v[102:103]    // 0000000059A0: D3B04066 1D9B4D08
	v_pk_fma_f32 v[104:105], v[26:27], v[168:169], v[104:105]  // 0000000059A8: D3B04068 1DA3511A
	v_pk_fma_f32 v[106:107], v[26:27], v[170:171], v[106:107]  // 0000000059B0: D3B0406A 1DAB551A
	v_pk_fma_f32 v[108:109], v[8:9], v[172:173], v[108:109]    // 0000000059B8: D3B0406C 1DB35908
	v_pk_fma_f32 v[110:111], v[8:9], v[174:175], v[110:111]    // 0000000059C0: D3B0406E 1DBB5D08
	v_mfma_i32_16x16x32_i8 v[184:187], a[240:241], v[224:225], 0// 0000000059C8: D3D700B8 0A03C1F0
	v_mfma_i32_16x16x32_i8 v[184:187], a[242:243], v[226:227], v[184:187]// 0000000059D0: D3D700B8 0EE3C5F2
	buffer_load_dwordx4 a[112:115], v43, s[24:27], 0 offen     // 0000000059D8: E05C1000 8086702B
	v_mfma_i32_16x16x32_i8 v[184:187], a[244:245], v[228:229], v[184:187]// 0000000059E0: D3D700B8 0EE3C9F4
	v_mfma_i32_16x16x32_i8 v[184:187], a[246:247], v[230:231], v[184:187]// 0000000059E8: D3D700B8 0EE3CDF6
	v_mfma_i32_16x16x32_i8 v[184:187], a[248:249], v[232:233], v[184:187]// 0000000059F0: D3D700B8 0EE3D1F8
	v_mfma_i32_16x16x32_i8 v[184:187], a[250:251], v[234:235], v[184:187]// 0000000059F8: D3D700B8 0EE3D5FA
	buffer_load_dwordx4 a[116:119], v43, s[24:27], 0 offen offset:1024// 000000005A00: E05C1400 8086742B
	v_mfma_i32_16x16x32_i8 v[184:187], a[252:253], v[236:237], v[184:187]// 000000005A08: D3D700B8 0EE3D9FC
	v_mfma_i32_16x16x32_i8 v[184:187], a[254:255], v[238:239], v[184:187]// 000000005A10: D3D700B8 0EE3DDFE
	v_mfma_i32_16x16x32_i8 v[188:191], a[240:241], v[240:241], 0// 000000005A18: D3D700BC 0A03E1F0
	v_mfma_i32_16x16x32_i8 v[188:191], a[242:243], v[242:243], v[188:191]// 000000005A20: D3D700BC 0EF3E5F2
	buffer_load_dwordx4 a[120:123], v43, s[24:27], 0 offen offset:2048// 000000005A28: E05C1800 8086782B
	v_mfma_i32_16x16x32_i8 v[188:191], a[244:245], v[244:245], v[188:191]// 000000005A30: D3D700BC 0EF3E9F4
	v_mfma_i32_16x16x32_i8 v[188:191], a[246:247], v[246:247], v[188:191]// 000000005A38: D3D700BC 0EF3EDF6
	v_mfma_i32_16x16x32_i8 v[188:191], a[248:249], v[248:249], v[188:191]// 000000005A40: D3D700BC 0EF3F1F8
	v_mfma_i32_16x16x32_i8 v[188:191], a[250:251], v[250:251], v[188:191]// 000000005A48: D3D700BC 0EF3F5FA
	buffer_load_dwordx4 a[124:127], v43, s[24:27], 0 offen offset:3072// 000000005A50: E05C1C00 80867C2B
	v_mfma_i32_16x16x32_i8 v[188:191], a[252:253], v[252:253], v[188:191]// 000000005A58: D3D700BC 0EF3F9FC
	v_mfma_i32_16x16x32_i8 v[188:191], a[254:255], v[254:255], v[188:191]// 000000005A60: D3D700BC 0EF3FDFE
	s_add_u32 s24, s58, s24                                    // 000000005A68: 8018183A
	s_addc_u32 s25, 0, s25                                     // 000000005A6C: 82191980
	s_add_u32 s28, s84, s28                                    // 000000005A70: 801C1C54
	s_addc_u32 s29, 0, s29                                     // 000000005A74: 821D1D80
	v_cvt_f32_i32_e32 v176, v176                               // 000000005A78: 7F600BB0
	v_cvt_f32_i32_e32 v177, v177                               // 000000005A7C: 7F620BB1
	v_cvt_f32_i32_e32 v178, v178                               // 000000005A80: 7F640BB2
	v_cvt_f32_i32_e32 v179, v179                               // 000000005A84: 7F660BB3
	v_cvt_f32_i32_e32 v180, v180                               // 000000005A88: 7F680BB4
	v_cvt_f32_i32_e32 v181, v181                               // 000000005A8C: 7F6A0BB5
	v_cvt_f32_i32_e32 v182, v182                               // 000000005A90: 7F6C0BB6
	v_cvt_f32_i32_e32 v183, v183                               // 000000005A94: 7F6E0BB7
	v_cvt_f32_i32_e32 v184, v184                               // 000000005A98: 7F700BB8
	v_cvt_f32_i32_e32 v185, v185                               // 000000005A9C: 7F720BB9
	v_cvt_f32_i32_e32 v186, v186                               // 000000005AA0: 7F740BBA
	v_cvt_f32_i32_e32 v187, v187                               // 000000005AA4: 7F760BBB
	v_cvt_f32_i32_e32 v188, v188                               // 000000005AA8: 7F780BBC
	v_cvt_f32_i32_e32 v189, v189                               // 000000005AAC: 7F7A0BBD
	v_cvt_f32_i32_e32 v190, v190                               // 000000005AB0: 7F7C0BBE
	v_cvt_f32_i32_e32 v191, v191                               // 000000005AB4: 7F7E0BBF
	v_pk_fma_f32 v[112:113], v[26:27], v[176:177], v[112:113]  // 000000005AB8: D3B04070 1DC3611A
	v_pk_fma_f32 v[114:115], v[26:27], v[178:179], v[114:115]  // 000000005AC0: D3B04072 1DCB651A
	v_pk_fma_f32 v[116:117], v[8:9], v[180:181], v[116:117]    // 000000005AC8: D3B04074 1DD36908
	v_pk_fma_f32 v[118:119], v[8:9], v[182:183], v[118:119]    // 000000005AD0: D3B04076 1DDB6D08
	v_pk_fma_f32 v[120:121], v[26:27], v[184:185], v[120:121]  // 000000005AD8: D3B04078 1DE3711A
	v_pk_fma_f32 v[122:123], v[26:27], v[186:187], v[122:123]  // 000000005AE0: D3B0407A 1DEB751A
	v_pk_fma_f32 v[124:125], v[8:9], v[188:189], v[124:125]    // 000000005AE8: D3B0407C 1DF37908
	v_pk_fma_f32 v[126:127], v[8:9], v[190:191], v[126:127]    // 000000005AF0: D3B0407E 1DFB7D08
	s_addk_i32 s80, 0x100                                      // 000000005AF8: B7500100
	s_cmp_lt_i32 s80, s81                                      // 000000005AFC: BF045150
	s_cbranch_scc0 label_0B42                                  // 000000005B00: BF840001
	s_branch label_03F5                                        // 000000005B04: BF82F8B3

0000000000005b08 <label_0B42>:
	s_mov_b32 s36, -1                                          // 000000005B08: BEA400C1
	s_mov_b32 s37, -1                                          // 000000005B0C: BEA500C1
	s_mov_b64 s[60:61], 0                                      // 000000005B10: BEBC0180
	s_cmp_lt_u32 s86, s66                                      // 000000005B14: BF0A4256
	s_cselect_b64 s[20:21], s[36:37], s[60:61]                 // 000000005B18: 85943C24
	s_cmp_lt_u32 s87, s66                                      // 000000005B1C: BF0A4257
	s_cselect_b64 s[22:23], s[36:37], s[60:61]                 // 000000005B20: 85963C24
	s_cmp_lt_u32 s88, s66                                      // 000000005B24: BF0A4258
	s_cselect_b64 s[24:25], s[36:37], s[60:61]                 // 000000005B28: 85983C24
	s_cmp_lt_u32 s89, s66                                      // 000000005B2C: BF0A4259
	s_cselect_b64 s[26:27], s[36:37], s[60:61]                 // 000000005B30: 859A3C24
	s_cmp_lt_u32 s90, s66                                      // 000000005B34: BF0A425A
	s_cselect_b64 s[28:29], s[36:37], s[60:61]                 // 000000005B38: 859C3C24
	s_cmp_lt_u32 s91, s66                                      // 000000005B3C: BF0A425B
	s_cselect_b64 s[30:31], s[36:37], s[60:61]                 // 000000005B40: 859E3C24
	s_cmp_lt_u32 s92, s66                                      // 000000005B44: BF0A425C
	s_cselect_b64 s[32:33], s[36:37], s[60:61]                 // 000000005B48: 85A03C24
	s_cmp_lt_u32 s93, s66                                      // 000000005B4C: BF0A425D
	s_cselect_b64 s[34:35], s[36:37], s[60:61]                 // 000000005B50: 85A23C24
	v_mov_b32_e32 v60, 0xbfcc4231                              // 000000005B54: 7E7802FF BFCC4231
	v_mov_b32_e32 v61, 0xbfcc4231                              // 000000005B5C: 7E7A02FF BFCC4231
	v_mov_b32_e32 v57, 0xffff0000                              // 000000005B64: 7E7202FF FFFF0000
	v_mov_b32_e32 v58, 0x7fff0000                              // 000000005B6C: 7E7402FF 7FFF0000
	v_mov_b32_e32 v59, 0x7fff                                  // 000000005B74: 7E7602FF 00007FFF
	s_mul_i32 s60, s5, 16                                      // 000000005B7C: 923C9005
	s_mul_i32 s60, s60, s70                                    // 000000005B80: 923C463C
	v_lshlrev_b32_e32 v48, 4, v0                               // 000000005B84: 24600084
	v_add_u32_e32 v48, s60, v48                                // 000000005B88: 6860603C
	s_mul_i32 s60, 64, s70                                     // 000000005B8C: 923C46C0
	v_add_u32_e32 v49, s60, v48                                // 000000005B90: 6862603C
	v_add_u32_e32 v50, s60, v49                                // 000000005B94: 6864623C
	v_add_u32_e32 v51, s60, v50                                // 000000005B98: 6866643C
	v_lshrrev_b32_e32 v44, 4, v0                               // 000000005B9C: 20580084
	v_mul_i32_i24_e32 v3, 34, v44                              // 000000005BA0: 0C0658A2
	v_and_b32_e32 v44, 15, v0                                  // 000000005BA4: 2658008F
	v_mul_i32_i24_e32 v45, 2, v44                              // 000000005BA8: 0C5A5882
	v_add_u32_e32 v3, v45, v3                                  // 000000005BAC: 6806072D
	s_mul_i32 s60, s5, 0x88                                    // 000000005BB0: 923CFF05 00000088
	v_add_u32_e32 v3, s60, v3                                  // 000000005BB8: 6806063C
	v_lshlrev_b32_e32 v3, 2, v3                                // 000000005BBC: 24060682
	v_lshrrev_b32_e32 v44, 1, v0                               // 000000005BC0: 20580081
	v_mul_i32_i24_e32 v4, 34, v44                              // 000000005BC4: 0C0858A2
	v_and_b32_e32 v45, 1, v0                                   // 000000005BC8: 265A0081
	v_add_u32_e32 v4, v45, v4                                  // 000000005BCC: 6808092D
	s_mul_i32 s60, s5, 2                                       // 000000005BD0: 923C8205
	v_add_u32_e32 v4, s60, v4                                  // 000000005BD4: 6808083C
	v_lshlrev_b32_e32 v4, 2, v4                                // 000000005BD8: 24080882
	v_mul_f32_dpp v128, v16, v64 row_newbcast:0 row_mask:0xf bank_mask:0xf// 000000005BDC: 0B0080FA FF015010
	v_mul_f32_dpp v129, v16, v65 row_newbcast:1 row_mask:0xf bank_mask:0xf// 000000005BE4: 0B0282FA FF015110
	v_mul_f32_dpp v130, v16, v66 row_newbcast:2 row_mask:0xf bank_mask:0xf// 000000005BEC: 0B0484FA FF015210
	v_mul_f32_dpp v131, v16, v67 row_newbcast:3 row_mask:0xf bank_mask:0xf// 000000005BF4: 0B0686FA FF015310
	v_mul_f32_dpp v132, v16, v68 row_newbcast:0 row_mask:0xf bank_mask:0xf// 000000005BFC: 0B0888FA FF015010
	v_mul_f32_dpp v133, v16, v69 row_newbcast:1 row_mask:0xf bank_mask:0xf// 000000005C04: 0B0A8AFA FF015110
	v_mul_f32_dpp v134, v16, v70 row_newbcast:2 row_mask:0xf bank_mask:0xf// 000000005C0C: 0B0C8CFA FF015210
	v_mul_f32_dpp v135, v16, v71 row_newbcast:3 row_mask:0xf bank_mask:0xf// 000000005C14: 0B0E8EFA FF015310
	v_mul_f32_dpp v136, v16, v72 row_newbcast:4 row_mask:0xf bank_mask:0xf// 000000005C1C: 0B1090FA FF015410
	v_mul_f32_dpp v137, v16, v73 row_newbcast:5 row_mask:0xf bank_mask:0xf// 000000005C24: 0B1292FA FF015510
	v_mul_f32_dpp v138, v16, v74 row_newbcast:6 row_mask:0xf bank_mask:0xf// 000000005C2C: 0B1494FA FF015610
	v_mul_f32_dpp v139, v16, v75 row_newbcast:7 row_mask:0xf bank_mask:0xf// 000000005C34: 0B1696FA FF015710
	v_mul_f32_dpp v140, v16, v76 row_newbcast:4 row_mask:0xf bank_mask:0xf// 000000005C3C: 0B1898FA FF015410
	v_mul_f32_dpp v141, v16, v77 row_newbcast:5 row_mask:0xf bank_mask:0xf// 000000005C44: 0B1A9AFA FF015510
	v_mul_f32_dpp v142, v16, v78 row_newbcast:6 row_mask:0xf bank_mask:0xf// 000000005C4C: 0B1C9CFA FF015610
	v_mul_f32_dpp v143, v16, v79 row_newbcast:7 row_mask:0xf bank_mask:0xf// 000000005C54: 0B1E9EFA FF015710
	v_mul_f32_dpp v144, v16, v80 row_newbcast:8 row_mask:0xf bank_mask:0xf// 000000005C5C: 0B20A0FA FF015810
	v_mul_f32_dpp v145, v16, v81 row_newbcast:9 row_mask:0xf bank_mask:0xf// 000000005C64: 0B22A2FA FF015910
	v_mul_f32_dpp v146, v16, v82 row_newbcast:10 row_mask:0xf bank_mask:0xf// 000000005C6C: 0B24A4FA FF015A10
	v_mul_f32_dpp v147, v16, v83 row_newbcast:11 row_mask:0xf bank_mask:0xf// 000000005C74: 0B26A6FA FF015B10
	v_mul_f32_dpp v148, v16, v84 row_newbcast:8 row_mask:0xf bank_mask:0xf// 000000005C7C: 0B28A8FA FF015810
	v_mul_f32_dpp v149, v16, v85 row_newbcast:9 row_mask:0xf bank_mask:0xf// 000000005C84: 0B2AAAFA FF015910
	v_mul_f32_dpp v150, v16, v86 row_newbcast:10 row_mask:0xf bank_mask:0xf// 000000005C8C: 0B2CACFA FF015A10
	v_mul_f32_dpp v151, v16, v87 row_newbcast:11 row_mask:0xf bank_mask:0xf// 000000005C94: 0B2EAEFA FF015B10
	v_mul_f32_dpp v152, v16, v88 row_newbcast:12 row_mask:0xf bank_mask:0xf// 000000005C9C: 0B30B0FA FF015C10
	v_mul_f32_dpp v153, v16, v89 row_newbcast:13 row_mask:0xf bank_mask:0xf// 000000005CA4: 0B32B2FA FF015D10
	v_mul_f32_dpp v154, v16, v90 row_newbcast:14 row_mask:0xf bank_mask:0xf// 000000005CAC: 0B34B4FA FF015E10
	v_mul_f32_dpp v155, v16, v91 row_newbcast:15 row_mask:0xf bank_mask:0xf// 000000005CB4: 0B36B6FA FF015F10
	v_mul_f32_dpp v156, v16, v92 row_newbcast:12 row_mask:0xf bank_mask:0xf// 000000005CBC: 0B38B8FA FF015C10
	v_mul_f32_dpp v157, v16, v93 row_newbcast:13 row_mask:0xf bank_mask:0xf// 000000005CC4: 0B3ABAFA FF015D10
	v_mul_f32_dpp v158, v16, v94 row_newbcast:14 row_mask:0xf bank_mask:0xf// 000000005CCC: 0B3CBCFA FF015E10
	v_mul_f32_dpp v159, v16, v95 row_newbcast:15 row_mask:0xf bank_mask:0xf// 000000005CD4: 0B3EBEFA FF015F10
	v_mul_f32_dpp v160, v17, v96 row_newbcast:0 row_mask:0xf bank_mask:0xf// 000000005CDC: 0B40C0FA FF015011
	v_mul_f32_dpp v161, v17, v97 row_newbcast:1 row_mask:0xf bank_mask:0xf// 000000005CE4: 0B42C2FA FF015111
	v_mul_f32_dpp v162, v17, v98 row_newbcast:2 row_mask:0xf bank_mask:0xf// 000000005CEC: 0B44C4FA FF015211
	v_mul_f32_dpp v163, v17, v99 row_newbcast:3 row_mask:0xf bank_mask:0xf// 000000005CF4: 0B46C6FA FF015311
	v_mul_f32_dpp v164, v17, v100 row_newbcast:0 row_mask:0xf bank_mask:0xf// 000000005CFC: 0B48C8FA FF015011
	v_mul_f32_dpp v165, v17, v101 row_newbcast:1 row_mask:0xf bank_mask:0xf// 000000005D04: 0B4ACAFA FF015111
	v_mul_f32_dpp v166, v17, v102 row_newbcast:2 row_mask:0xf bank_mask:0xf// 000000005D0C: 0B4CCCFA FF015211
	v_mul_f32_dpp v167, v17, v103 row_newbcast:3 row_mask:0xf bank_mask:0xf// 000000005D14: 0B4ECEFA FF015311
	v_mul_f32_dpp v168, v17, v104 row_newbcast:4 row_mask:0xf bank_mask:0xf// 000000005D1C: 0B50D0FA FF015411
	v_mul_f32_dpp v169, v17, v105 row_newbcast:5 row_mask:0xf bank_mask:0xf// 000000005D24: 0B52D2FA FF015511
	v_mul_f32_dpp v170, v17, v106 row_newbcast:6 row_mask:0xf bank_mask:0xf// 000000005D2C: 0B54D4FA FF015611
	v_mul_f32_dpp v171, v17, v107 row_newbcast:7 row_mask:0xf bank_mask:0xf// 000000005D34: 0B56D6FA FF015711
	v_mul_f32_dpp v172, v17, v108 row_newbcast:4 row_mask:0xf bank_mask:0xf// 000000005D3C: 0B58D8FA FF015411
	v_mul_f32_dpp v173, v17, v109 row_newbcast:5 row_mask:0xf bank_mask:0xf// 000000005D44: 0B5ADAFA FF015511
	v_mul_f32_dpp v174, v17, v110 row_newbcast:6 row_mask:0xf bank_mask:0xf// 000000005D4C: 0B5CDCFA FF015611
	v_mul_f32_dpp v175, v17, v111 row_newbcast:7 row_mask:0xf bank_mask:0xf// 000000005D54: 0B5EDEFA FF015711
	v_mul_f32_dpp v176, v17, v112 row_newbcast:8 row_mask:0xf bank_mask:0xf// 000000005D5C: 0B60E0FA FF015811
	v_mul_f32_dpp v177, v17, v113 row_newbcast:9 row_mask:0xf bank_mask:0xf// 000000005D64: 0B62E2FA FF015911
	v_mul_f32_dpp v178, v17, v114 row_newbcast:10 row_mask:0xf bank_mask:0xf// 000000005D6C: 0B64E4FA FF015A11
	v_mul_f32_dpp v179, v17, v115 row_newbcast:11 row_mask:0xf bank_mask:0xf// 000000005D74: 0B66E6FA FF015B11
	v_mul_f32_dpp v180, v17, v116 row_newbcast:8 row_mask:0xf bank_mask:0xf// 000000005D7C: 0B68E8FA FF015811
	v_mul_f32_dpp v181, v17, v117 row_newbcast:9 row_mask:0xf bank_mask:0xf// 000000005D84: 0B6AEAFA FF015911
	v_mul_f32_dpp v182, v17, v118 row_newbcast:10 row_mask:0xf bank_mask:0xf// 000000005D8C: 0B6CECFA FF015A11
	v_mul_f32_dpp v183, v17, v119 row_newbcast:11 row_mask:0xf bank_mask:0xf// 000000005D94: 0B6EEEFA FF015B11
	v_mul_f32_dpp v184, v17, v120 row_newbcast:12 row_mask:0xf bank_mask:0xf// 000000005D9C: 0B70F0FA FF015C11
	v_mul_f32_dpp v185, v17, v121 row_newbcast:13 row_mask:0xf bank_mask:0xf// 000000005DA4: 0B72F2FA FF015D11
	v_mul_f32_dpp v186, v17, v122 row_newbcast:14 row_mask:0xf bank_mask:0xf// 000000005DAC: 0B74F4FA FF015E11
	v_mul_f32_dpp v187, v17, v123 row_newbcast:15 row_mask:0xf bank_mask:0xf// 000000005DB4: 0B76F6FA FF015F11
	v_mul_f32_dpp v188, v17, v124 row_newbcast:12 row_mask:0xf bank_mask:0xf// 000000005DBC: 0B78F8FA FF015C11
	v_mul_f32_dpp v189, v17, v125 row_newbcast:13 row_mask:0xf bank_mask:0xf// 000000005DC4: 0B7AFAFA FF015D11
	v_mul_f32_dpp v190, v17, v126 row_newbcast:14 row_mask:0xf bank_mask:0xf// 000000005DCC: 0B7CFCFA FF015E11
	v_mul_f32_dpp v191, v17, v127 row_newbcast:15 row_mask:0xf bank_mask:0xf// 000000005DD4: 0B7EFEFA FF015F11
	s_waitcnt vmcnt(24)                                        // 000000005DDC: BF8C4F78
	buffer_load_dwordx4 a[0:3], v48, s[12:15], 0 offen         // 000000005DE0: E05C1000 80830030
	v_pk_mul_f32 v[44:45], v[128:129], v[128:129]              // 000000005DE8: D3B1402C 18030180
	v_pk_mul_f32 v[46:47], v[130:131], v[130:131]              // 000000005DF0: D3B1402E 18030582
	v_pk_fma_f32 v[44:45], v[44:45], s[82:83], v[60:61]        // 000000005DF8: D3B0402C 1CF0A52C
	v_pk_fma_f32 v[46:47], v[46:47], s[82:83], v[60:61]        // 000000005E00: D3B0402E 1CF0A52E
	v_pk_mul_f32 v[44:45], v[44:45], v[128:129]                // 000000005E08: D3B1402C 1803012C
	v_pk_mul_f32 v[46:47], v[46:47], v[130:131]                // 000000005E10: D3B1402E 1803052E
	v_pk_mul_f32 v[44:45], v[44:45], s[6:7]                    // 000000005E18: D3B1402C 18000D2C
	v_pk_mul_f32 v[46:47], v[46:47], s[6:7]                    // 000000005E20: D3B1402E 18000D2E
	v_exp_f32_e32 v44, v44                                     // 000000005E28: 7E58412C
	v_exp_f32_e32 v45, v45                                     // 000000005E2C: 7E5A412D
	v_exp_f32_e32 v46, v46                                     // 000000005E30: 7E5C412E
	v_exp_f32_e32 v47, v47                                     // 000000005E34: 7E5E412F
	buffer_load_dwordx4 a[4:7], v48, s[12:15], 0 offen offset:1024// 000000005E38: E05C1400 80830430
	v_add_f32_e64 v44, v44, 1.0                                // 000000005E40: D101002C 0001E52C
	v_add_f32_e64 v45, v45, 1.0                                // 000000005E48: D101002D 0001E52D
	v_add_f32_e64 v46, v46, 1.0                                // 000000005E50: D101002E 0001E52E
	v_add_f32_e64 v47, v47, 1.0                                // 000000005E58: D101002F 0001E52F
	v_rcp_f32_e32 v44, v44                                     // 000000005E60: 7E58452C
	v_rcp_f32_e32 v45, v45                                     // 000000005E64: 7E5A452D
	v_rcp_f32_e32 v46, v46                                     // 000000005E68: 7E5C452E
	v_rcp_f32_e32 v47, v47                                     // 000000005E6C: 7E5E452F
	v_pk_mul_f32 v[128:129], v[128:129], v[44:45]              // 000000005E70: D3B14080 18025980
	v_pk_mul_f32 v[130:131], v[130:131], v[46:47]              // 000000005E78: D3B14082 18025D82
	buffer_load_dwordx4 a[8:11], v48, s[12:15], 0 offen offset:2048// 000000005E80: E05C1800 80830830
	v_pk_mul_f32 v[44:45], v[132:133], v[132:133]              // 000000005E88: D3B1402C 18030984
	v_pk_mul_f32 v[46:47], v[134:135], v[134:135]              // 000000005E90: D3B1402E 18030D86
	v_pk_fma_f32 v[44:45], v[44:45], s[82:83], v[60:61]        // 000000005E98: D3B0402C 1CF0A52C
	v_pk_fma_f32 v[46:47], v[46:47], s[82:83], v[60:61]        // 000000005EA0: D3B0402E 1CF0A52E
	v_pk_mul_f32 v[44:45], v[44:45], v[132:133]                // 000000005EA8: D3B1402C 1803092C
	v_pk_mul_f32 v[46:47], v[46:47], v[134:135]                // 000000005EB0: D3B1402E 18030D2E
	v_pk_mul_f32 v[44:45], v[44:45], s[6:7]                    // 000000005EB8: D3B1402C 18000D2C
	v_pk_mul_f32 v[46:47], v[46:47], s[6:7]                    // 000000005EC0: D3B1402E 18000D2E
	v_exp_f32_e32 v44, v44                                     // 000000005EC8: 7E58412C
	v_exp_f32_e32 v45, v45                                     // 000000005ECC: 7E5A412D
	v_exp_f32_e32 v46, v46                                     // 000000005ED0: 7E5C412E
	v_exp_f32_e32 v47, v47                                     // 000000005ED4: 7E5E412F
	buffer_load_dwordx4 a[12:15], v48, s[12:15], 0 offen offset:3072// 000000005ED8: E05C1C00 80830C30
	v_add_f32_e64 v44, v44, 1.0                                // 000000005EE0: D101002C 0001E52C
	v_add_f32_e64 v45, v45, 1.0                                // 000000005EE8: D101002D 0001E52D
	v_add_f32_e64 v46, v46, 1.0                                // 000000005EF0: D101002E 0001E52E
	v_add_f32_e64 v47, v47, 1.0                                // 000000005EF8: D101002F 0001E52F
	v_rcp_f32_e32 v44, v44                                     // 000000005F00: 7E58452C
	v_rcp_f32_e32 v45, v45                                     // 000000005F04: 7E5A452D
	v_rcp_f32_e32 v46, v46                                     // 000000005F08: 7E5C452E
	v_rcp_f32_e32 v47, v47                                     // 000000005F0C: 7E5E452F
	v_pk_mul_f32 v[132:133], v[132:133], v[44:45]              // 000000005F10: D3B14084 18025984
	v_pk_mul_f32 v[134:135], v[134:135], v[46:47]              // 000000005F18: D3B14086 18025D86
	buffer_load_dwordx4 a[16:19], v49, s[12:15], 0 offen       // 000000005F20: E05C1000 80831031
	v_pk_mul_f32 v[44:45], v[136:137], v[136:137]              // 000000005F28: D3B1402C 18031188
	v_pk_mul_f32 v[46:47], v[138:139], v[138:139]              // 000000005F30: D3B1402E 1803158A
	v_pk_fma_f32 v[44:45], v[44:45], s[82:83], v[60:61]        // 000000005F38: D3B0402C 1CF0A52C
	v_pk_fma_f32 v[46:47], v[46:47], s[82:83], v[60:61]        // 000000005F40: D3B0402E 1CF0A52E
	v_pk_mul_f32 v[44:45], v[44:45], v[136:137]                // 000000005F48: D3B1402C 1803112C
	v_pk_mul_f32 v[46:47], v[46:47], v[138:139]                // 000000005F50: D3B1402E 1803152E
	v_pk_mul_f32 v[44:45], v[44:45], s[6:7]                    // 000000005F58: D3B1402C 18000D2C
	v_pk_mul_f32 v[46:47], v[46:47], s[6:7]                    // 000000005F60: D3B1402E 18000D2E
	v_exp_f32_e32 v44, v44                                     // 000000005F68: 7E58412C
	v_exp_f32_e32 v45, v45                                     // 000000005F6C: 7E5A412D
	v_exp_f32_e32 v46, v46                                     // 000000005F70: 7E5C412E
	v_exp_f32_e32 v47, v47                                     // 000000005F74: 7E5E412F
	buffer_load_dwordx4 a[20:23], v49, s[12:15], 0 offen offset:1024// 000000005F78: E05C1400 80831431
	v_add_f32_e64 v44, v44, 1.0                                // 000000005F80: D101002C 0001E52C
	v_add_f32_e64 v45, v45, 1.0                                // 000000005F88: D101002D 0001E52D
	v_add_f32_e64 v46, v46, 1.0                                // 000000005F90: D101002E 0001E52E
	v_add_f32_e64 v47, v47, 1.0                                // 000000005F98: D101002F 0001E52F
	v_rcp_f32_e32 v44, v44                                     // 000000005FA0: 7E58452C
	v_rcp_f32_e32 v45, v45                                     // 000000005FA4: 7E5A452D
	v_rcp_f32_e32 v46, v46                                     // 000000005FA8: 7E5C452E
	v_rcp_f32_e32 v47, v47                                     // 000000005FAC: 7E5E452F
	v_pk_mul_f32 v[136:137], v[136:137], v[44:45]              // 000000005FB0: D3B14088 18025988
	v_pk_mul_f32 v[138:139], v[138:139], v[46:47]              // 000000005FB8: D3B1408A 18025D8A
	buffer_load_dwordx4 a[24:27], v49, s[12:15], 0 offen offset:2048// 000000005FC0: E05C1800 80831831
	v_pk_mul_f32 v[44:45], v[140:141], v[140:141]              // 000000005FC8: D3B1402C 1803198C
	v_pk_mul_f32 v[46:47], v[142:143], v[142:143]              // 000000005FD0: D3B1402E 18031D8E
	v_pk_fma_f32 v[44:45], v[44:45], s[82:83], v[60:61]        // 000000005FD8: D3B0402C 1CF0A52C
	v_pk_fma_f32 v[46:47], v[46:47], s[82:83], v[60:61]        // 000000005FE0: D3B0402E 1CF0A52E
	v_pk_mul_f32 v[44:45], v[44:45], v[140:141]                // 000000005FE8: D3B1402C 1803192C
	v_pk_mul_f32 v[46:47], v[46:47], v[142:143]                // 000000005FF0: D3B1402E 18031D2E
	v_pk_mul_f32 v[44:45], v[44:45], s[6:7]                    // 000000005FF8: D3B1402C 18000D2C
	v_pk_mul_f32 v[46:47], v[46:47], s[6:7]                    // 000000006000: D3B1402E 18000D2E
	v_exp_f32_e32 v44, v44                                     // 000000006008: 7E58412C
	v_exp_f32_e32 v45, v45                                     // 00000000600C: 7E5A412D
	v_exp_f32_e32 v46, v46                                     // 000000006010: 7E5C412E
	v_exp_f32_e32 v47, v47                                     // 000000006014: 7E5E412F
	buffer_load_dwordx4 a[28:31], v49, s[12:15], 0 offen offset:3072// 000000006018: E05C1C00 80831C31
	v_add_f32_e64 v44, v44, 1.0                                // 000000006020: D101002C 0001E52C
	v_add_f32_e64 v45, v45, 1.0                                // 000000006028: D101002D 0001E52D
	v_add_f32_e64 v46, v46, 1.0                                // 000000006030: D101002E 0001E52E
	v_add_f32_e64 v47, v47, 1.0                                // 000000006038: D101002F 0001E52F
	v_rcp_f32_e32 v44, v44                                     // 000000006040: 7E58452C
	v_rcp_f32_e32 v45, v45                                     // 000000006044: 7E5A452D
	v_rcp_f32_e32 v46, v46                                     // 000000006048: 7E5C452E
	v_rcp_f32_e32 v47, v47                                     // 00000000604C: 7E5E452F
	v_pk_mul_f32 v[140:141], v[140:141], v[44:45]              // 000000006050: D3B1408C 1802598C
	v_pk_mul_f32 v[142:143], v[142:143], v[46:47]              // 000000006058: D3B1408E 18025D8E
	s_waitcnt vmcnt(24)                                        // 000000006060: BF8C4F78
	buffer_load_dwordx4 a[32:35], v50, s[12:15], 0 offen       // 000000006064: E05C1000 80832032
	v_pk_mul_f32 v[44:45], v[144:145], v[144:145]              // 00000000606C: D3B1402C 18032190
	v_pk_mul_f32 v[46:47], v[146:147], v[146:147]              // 000000006074: D3B1402E 18032592
	v_pk_fma_f32 v[44:45], v[44:45], s[82:83], v[60:61]        // 00000000607C: D3B0402C 1CF0A52C
	v_pk_fma_f32 v[46:47], v[46:47], s[82:83], v[60:61]        // 000000006084: D3B0402E 1CF0A52E
	v_pk_mul_f32 v[44:45], v[44:45], v[144:145]                // 00000000608C: D3B1402C 1803212C
	v_pk_mul_f32 v[46:47], v[46:47], v[146:147]                // 000000006094: D3B1402E 1803252E
	v_pk_mul_f32 v[44:45], v[44:45], s[6:7]                    // 00000000609C: D3B1402C 18000D2C
	v_pk_mul_f32 v[46:47], v[46:47], s[6:7]                    // 0000000060A4: D3B1402E 18000D2E
	v_exp_f32_e32 v44, v44                                     // 0000000060AC: 7E58412C
	v_exp_f32_e32 v45, v45                                     // 0000000060B0: 7E5A412D
	v_exp_f32_e32 v46, v46                                     // 0000000060B4: 7E5C412E
	v_exp_f32_e32 v47, v47                                     // 0000000060B8: 7E5E412F
	buffer_load_dwordx4 a[36:39], v50, s[12:15], 0 offen offset:1024// 0000000060BC: E05C1400 80832432
	v_add_f32_e64 v44, v44, 1.0                                // 0000000060C4: D101002C 0001E52C
	v_add_f32_e64 v45, v45, 1.0                                // 0000000060CC: D101002D 0001E52D
	v_add_f32_e64 v46, v46, 1.0                                // 0000000060D4: D101002E 0001E52E
	v_add_f32_e64 v47, v47, 1.0                                // 0000000060DC: D101002F 0001E52F
	v_rcp_f32_e32 v44, v44                                     // 0000000060E4: 7E58452C
	v_rcp_f32_e32 v45, v45                                     // 0000000060E8: 7E5A452D
	v_rcp_f32_e32 v46, v46                                     // 0000000060EC: 7E5C452E
	v_rcp_f32_e32 v47, v47                                     // 0000000060F0: 7E5E452F
	v_pk_mul_f32 v[144:145], v[144:145], v[44:45]              // 0000000060F4: D3B14090 18025990
	v_pk_mul_f32 v[146:147], v[146:147], v[46:47]              // 0000000060FC: D3B14092 18025D92
	buffer_load_dwordx4 a[40:43], v50, s[12:15], 0 offen offset:2048// 000000006104: E05C1800 80832832
	v_pk_mul_f32 v[44:45], v[148:149], v[148:149]              // 00000000610C: D3B1402C 18032994
	v_pk_mul_f32 v[46:47], v[150:151], v[150:151]              // 000000006114: D3B1402E 18032D96
	v_pk_fma_f32 v[44:45], v[44:45], s[82:83], v[60:61]        // 00000000611C: D3B0402C 1CF0A52C
	v_pk_fma_f32 v[46:47], v[46:47], s[82:83], v[60:61]        // 000000006124: D3B0402E 1CF0A52E
	v_pk_mul_f32 v[44:45], v[44:45], v[148:149]                // 00000000612C: D3B1402C 1803292C
	v_pk_mul_f32 v[46:47], v[46:47], v[150:151]                // 000000006134: D3B1402E 18032D2E
	v_pk_mul_f32 v[44:45], v[44:45], s[6:7]                    // 00000000613C: D3B1402C 18000D2C
	v_pk_mul_f32 v[46:47], v[46:47], s[6:7]                    // 000000006144: D3B1402E 18000D2E
	v_exp_f32_e32 v44, v44                                     // 00000000614C: 7E58412C
	v_exp_f32_e32 v45, v45                                     // 000000006150: 7E5A412D
	v_exp_f32_e32 v46, v46                                     // 000000006154: 7E5C412E
	v_exp_f32_e32 v47, v47                                     // 000000006158: 7E5E412F
	buffer_load_dwordx4 a[44:47], v50, s[12:15], 0 offen offset:3072// 00000000615C: E05C1C00 80832C32
	v_add_f32_e64 v44, v44, 1.0                                // 000000006164: D101002C 0001E52C
	v_add_f32_e64 v45, v45, 1.0                                // 00000000616C: D101002D 0001E52D
	v_add_f32_e64 v46, v46, 1.0                                // 000000006174: D101002E 0001E52E
	v_add_f32_e64 v47, v47, 1.0                                // 00000000617C: D101002F 0001E52F
	v_rcp_f32_e32 v44, v44                                     // 000000006184: 7E58452C
	v_rcp_f32_e32 v45, v45                                     // 000000006188: 7E5A452D
	v_rcp_f32_e32 v46, v46                                     // 00000000618C: 7E5C452E
	v_rcp_f32_e32 v47, v47                                     // 000000006190: 7E5E452F
	v_pk_mul_f32 v[148:149], v[148:149], v[44:45]              // 000000006194: D3B14094 18025994
	v_pk_mul_f32 v[150:151], v[150:151], v[46:47]              // 00000000619C: D3B14096 18025D96
	buffer_load_dwordx4 a[48:51], v51, s[12:15], 0 offen       // 0000000061A4: E05C1000 80833033
	v_pk_mul_f32 v[44:45], v[152:153], v[152:153]              // 0000000061AC: D3B1402C 18033198
	v_pk_mul_f32 v[46:47], v[154:155], v[154:155]              // 0000000061B4: D3B1402E 1803359A
	v_pk_fma_f32 v[44:45], v[44:45], s[82:83], v[60:61]        // 0000000061BC: D3B0402C 1CF0A52C
	v_pk_fma_f32 v[46:47], v[46:47], s[82:83], v[60:61]        // 0000000061C4: D3B0402E 1CF0A52E
	v_pk_mul_f32 v[44:45], v[44:45], v[152:153]                // 0000000061CC: D3B1402C 1803312C
	v_pk_mul_f32 v[46:47], v[46:47], v[154:155]                // 0000000061D4: D3B1402E 1803352E
	v_pk_mul_f32 v[44:45], v[44:45], s[6:7]                    // 0000000061DC: D3B1402C 18000D2C
	v_pk_mul_f32 v[46:47], v[46:47], s[6:7]                    // 0000000061E4: D3B1402E 18000D2E
	v_exp_f32_e32 v44, v44                                     // 0000000061EC: 7E58412C
	v_exp_f32_e32 v45, v45                                     // 0000000061F0: 7E5A412D
	v_exp_f32_e32 v46, v46                                     // 0000000061F4: 7E5C412E
	v_exp_f32_e32 v47, v47                                     // 0000000061F8: 7E5E412F
	buffer_load_dwordx4 a[52:55], v51, s[12:15], 0 offen offset:1024// 0000000061FC: E05C1400 80833433
	v_add_f32_e64 v44, v44, 1.0                                // 000000006204: D101002C 0001E52C
	v_add_f32_e64 v45, v45, 1.0                                // 00000000620C: D101002D 0001E52D
	v_add_f32_e64 v46, v46, 1.0                                // 000000006214: D101002E 0001E52E
	v_add_f32_e64 v47, v47, 1.0                                // 00000000621C: D101002F 0001E52F
	v_rcp_f32_e32 v44, v44                                     // 000000006224: 7E58452C
	v_rcp_f32_e32 v45, v45                                     // 000000006228: 7E5A452D
	v_rcp_f32_e32 v46, v46                                     // 00000000622C: 7E5C452E
	v_rcp_f32_e32 v47, v47                                     // 000000006230: 7E5E452F
	v_pk_mul_f32 v[152:153], v[152:153], v[44:45]              // 000000006234: D3B14098 18025998
	v_pk_mul_f32 v[154:155], v[154:155], v[46:47]              // 00000000623C: D3B1409A 18025D9A
	buffer_load_dwordx4 a[56:59], v51, s[12:15], 0 offen offset:2048// 000000006244: E05C1800 80833833
	v_pk_mul_f32 v[44:45], v[156:157], v[156:157]              // 00000000624C: D3B1402C 1803399C
	v_pk_mul_f32 v[46:47], v[158:159], v[158:159]              // 000000006254: D3B1402E 18033D9E
	v_pk_fma_f32 v[44:45], v[44:45], s[82:83], v[60:61]        // 00000000625C: D3B0402C 1CF0A52C
	v_pk_fma_f32 v[46:47], v[46:47], s[82:83], v[60:61]        // 000000006264: D3B0402E 1CF0A52E
	v_pk_mul_f32 v[44:45], v[44:45], v[156:157]                // 00000000626C: D3B1402C 1803392C
	v_pk_mul_f32 v[46:47], v[46:47], v[158:159]                // 000000006274: D3B1402E 18033D2E
	v_pk_mul_f32 v[44:45], v[44:45], s[6:7]                    // 00000000627C: D3B1402C 18000D2C
	v_pk_mul_f32 v[46:47], v[46:47], s[6:7]                    // 000000006284: D3B1402E 18000D2E
	v_exp_f32_e32 v44, v44                                     // 00000000628C: 7E58412C
	v_exp_f32_e32 v45, v45                                     // 000000006290: 7E5A412D
	v_exp_f32_e32 v46, v46                                     // 000000006294: 7E5C412E
	v_exp_f32_e32 v47, v47                                     // 000000006298: 7E5E412F
	buffer_load_dwordx4 a[60:63], v51, s[12:15], 0 offen offset:3072// 00000000629C: E05C1C00 80833C33
	s_add_u32 s12, s78, s12                                    // 0000000062A4: 800C0C4E
	s_addc_u32 s13, 0, s13                                     // 0000000062A8: 820D0D80
	v_add_f32_e64 v44, v44, 1.0                                // 0000000062AC: D101002C 0001E52C
	v_add_f32_e64 v45, v45, 1.0                                // 0000000062B4: D101002D 0001E52D
	v_add_f32_e64 v46, v46, 1.0                                // 0000000062BC: D101002E 0001E52E
	v_add_f32_e64 v47, v47, 1.0                                // 0000000062C4: D101002F 0001E52F
	v_rcp_f32_e32 v44, v44                                     // 0000000062CC: 7E58452C
	v_rcp_f32_e32 v45, v45                                     // 0000000062D0: 7E5A452D
	v_rcp_f32_e32 v46, v46                                     // 0000000062D4: 7E5C452E
	v_rcp_f32_e32 v47, v47                                     // 0000000062D8: 7E5E452F
	v_pk_mul_f32 v[156:157], v[156:157], v[44:45]              // 0000000062DC: D3B1409C 1802599C
	v_pk_mul_f32 v[158:159], v[158:159], v[46:47]              // 0000000062E4: D3B1409E 18025D9E
	s_waitcnt vmcnt(24)                                        // 0000000062EC: BF8C4F78
	buffer_load_dwordx4 a[64:67], v48, s[12:15], 0 offen       // 0000000062F0: E05C1000 80834030
	v_pk_mul_f32 v[44:45], v[160:161], v[160:161]              // 0000000062F8: D3B1402C 180341A0
	v_pk_mul_f32 v[46:47], v[162:163], v[162:163]              // 000000006300: D3B1402E 180345A2
	v_pk_fma_f32 v[44:45], v[44:45], s[82:83], v[60:61]        // 000000006308: D3B0402C 1CF0A52C
	v_pk_fma_f32 v[46:47], v[46:47], s[82:83], v[60:61]        // 000000006310: D3B0402E 1CF0A52E
	v_pk_mul_f32 v[44:45], v[44:45], v[160:161]                // 000000006318: D3B1402C 1803412C
	v_pk_mul_f32 v[46:47], v[46:47], v[162:163]                // 000000006320: D3B1402E 1803452E
	v_pk_mul_f32 v[44:45], v[44:45], s[6:7]                    // 000000006328: D3B1402C 18000D2C
	v_pk_mul_f32 v[46:47], v[46:47], s[6:7]                    // 000000006330: D3B1402E 18000D2E
	v_exp_f32_e32 v44, v44                                     // 000000006338: 7E58412C
	v_exp_f32_e32 v45, v45                                     // 00000000633C: 7E5A412D
	v_exp_f32_e32 v46, v46                                     // 000000006340: 7E5C412E
	v_exp_f32_e32 v47, v47                                     // 000000006344: 7E5E412F
	buffer_load_dwordx4 a[68:71], v48, s[12:15], 0 offen offset:1024// 000000006348: E05C1400 80834430
	v_add_f32_e64 v44, v44, 1.0                                // 000000006350: D101002C 0001E52C
	v_add_f32_e64 v45, v45, 1.0                                // 000000006358: D101002D 0001E52D
	v_add_f32_e64 v46, v46, 1.0                                // 000000006360: D101002E 0001E52E
	v_add_f32_e64 v47, v47, 1.0                                // 000000006368: D101002F 0001E52F
	v_rcp_f32_e32 v44, v44                                     // 000000006370: 7E58452C
	v_rcp_f32_e32 v45, v45                                     // 000000006374: 7E5A452D
	v_rcp_f32_e32 v46, v46                                     // 000000006378: 7E5C452E
	v_rcp_f32_e32 v47, v47                                     // 00000000637C: 7E5E452F
	v_pk_mul_f32 v[160:161], v[160:161], v[44:45]              // 000000006380: D3B140A0 180259A0
	v_pk_mul_f32 v[162:163], v[162:163], v[46:47]              // 000000006388: D3B140A2 18025DA2
	buffer_load_dwordx4 a[72:75], v48, s[12:15], 0 offen offset:2048// 000000006390: E05C1800 80834830
	v_pk_mul_f32 v[44:45], v[164:165], v[164:165]              // 000000006398: D3B1402C 180349A4
	v_pk_mul_f32 v[46:47], v[166:167], v[166:167]              // 0000000063A0: D3B1402E 18034DA6
	v_pk_fma_f32 v[44:45], v[44:45], s[82:83], v[60:61]        // 0000000063A8: D3B0402C 1CF0A52C
	v_pk_fma_f32 v[46:47], v[46:47], s[82:83], v[60:61]        // 0000000063B0: D3B0402E 1CF0A52E
	v_pk_mul_f32 v[44:45], v[44:45], v[164:165]                // 0000000063B8: D3B1402C 1803492C
	v_pk_mul_f32 v[46:47], v[46:47], v[166:167]                // 0000000063C0: D3B1402E 18034D2E
	v_pk_mul_f32 v[44:45], v[44:45], s[6:7]                    // 0000000063C8: D3B1402C 18000D2C
	v_pk_mul_f32 v[46:47], v[46:47], s[6:7]                    // 0000000063D0: D3B1402E 18000D2E
	v_exp_f32_e32 v44, v44                                     // 0000000063D8: 7E58412C
	v_exp_f32_e32 v45, v45                                     // 0000000063DC: 7E5A412D
	v_exp_f32_e32 v46, v46                                     // 0000000063E0: 7E5C412E
	v_exp_f32_e32 v47, v47                                     // 0000000063E4: 7E5E412F
	buffer_load_dwordx4 a[76:79], v48, s[12:15], 0 offen offset:3072// 0000000063E8: E05C1C00 80834C30
	v_add_f32_e64 v44, v44, 1.0                                // 0000000063F0: D101002C 0001E52C
	v_add_f32_e64 v45, v45, 1.0                                // 0000000063F8: D101002D 0001E52D
	v_add_f32_e64 v46, v46, 1.0                                // 000000006400: D101002E 0001E52E
	v_add_f32_e64 v47, v47, 1.0                                // 000000006408: D101002F 0001E52F
	v_rcp_f32_e32 v44, v44                                     // 000000006410: 7E58452C
	v_rcp_f32_e32 v45, v45                                     // 000000006414: 7E5A452D
	v_rcp_f32_e32 v46, v46                                     // 000000006418: 7E5C452E
	v_rcp_f32_e32 v47, v47                                     // 00000000641C: 7E5E452F
	v_pk_mul_f32 v[164:165], v[164:165], v[44:45]              // 000000006420: D3B140A4 180259A4
	v_pk_mul_f32 v[166:167], v[166:167], v[46:47]              // 000000006428: D3B140A6 18025DA6
	buffer_load_dwordx4 a[80:83], v49, s[12:15], 0 offen       // 000000006430: E05C1000 80835031
	v_pk_mul_f32 v[44:45], v[168:169], v[168:169]              // 000000006438: D3B1402C 180351A8
	v_pk_mul_f32 v[46:47], v[170:171], v[170:171]              // 000000006440: D3B1402E 180355AA
	v_pk_fma_f32 v[44:45], v[44:45], s[82:83], v[60:61]        // 000000006448: D3B0402C 1CF0A52C
	v_pk_fma_f32 v[46:47], v[46:47], s[82:83], v[60:61]        // 000000006450: D3B0402E 1CF0A52E
	v_pk_mul_f32 v[44:45], v[44:45], v[168:169]                // 000000006458: D3B1402C 1803512C
	v_pk_mul_f32 v[46:47], v[46:47], v[170:171]                // 000000006460: D3B1402E 1803552E
	v_pk_mul_f32 v[44:45], v[44:45], s[6:7]                    // 000000006468: D3B1402C 18000D2C
	v_pk_mul_f32 v[46:47], v[46:47], s[6:7]                    // 000000006470: D3B1402E 18000D2E
	v_exp_f32_e32 v44, v44                                     // 000000006478: 7E58412C
	v_exp_f32_e32 v45, v45                                     // 00000000647C: 7E5A412D
	v_exp_f32_e32 v46, v46                                     // 000000006480: 7E5C412E
	v_exp_f32_e32 v47, v47                                     // 000000006484: 7E5E412F
	buffer_load_dwordx4 a[84:87], v49, s[12:15], 0 offen offset:1024// 000000006488: E05C1400 80835431
	v_add_f32_e64 v44, v44, 1.0                                // 000000006490: D101002C 0001E52C
	v_add_f32_e64 v45, v45, 1.0                                // 000000006498: D101002D 0001E52D
	v_add_f32_e64 v46, v46, 1.0                                // 0000000064A0: D101002E 0001E52E
	v_add_f32_e64 v47, v47, 1.0                                // 0000000064A8: D101002F 0001E52F
	v_rcp_f32_e32 v44, v44                                     // 0000000064B0: 7E58452C
	v_rcp_f32_e32 v45, v45                                     // 0000000064B4: 7E5A452D
	v_rcp_f32_e32 v46, v46                                     // 0000000064B8: 7E5C452E
	v_rcp_f32_e32 v47, v47                                     // 0000000064BC: 7E5E452F
	v_pk_mul_f32 v[168:169], v[168:169], v[44:45]              // 0000000064C0: D3B140A8 180259A8
	v_pk_mul_f32 v[170:171], v[170:171], v[46:47]              // 0000000064C8: D3B140AA 18025DAA
	buffer_load_dwordx4 a[88:91], v49, s[12:15], 0 offen offset:2048// 0000000064D0: E05C1800 80835831
	v_pk_mul_f32 v[44:45], v[172:173], v[172:173]              // 0000000064D8: D3B1402C 180359AC
	v_pk_mul_f32 v[46:47], v[174:175], v[174:175]              // 0000000064E0: D3B1402E 18035DAE
	v_pk_fma_f32 v[44:45], v[44:45], s[82:83], v[60:61]        // 0000000064E8: D3B0402C 1CF0A52C
	v_pk_fma_f32 v[46:47], v[46:47], s[82:83], v[60:61]        // 0000000064F0: D3B0402E 1CF0A52E
	v_pk_mul_f32 v[44:45], v[44:45], v[172:173]                // 0000000064F8: D3B1402C 1803592C
	v_pk_mul_f32 v[46:47], v[46:47], v[174:175]                // 000000006500: D3B1402E 18035D2E
	v_pk_mul_f32 v[44:45], v[44:45], s[6:7]                    // 000000006508: D3B1402C 18000D2C
	v_pk_mul_f32 v[46:47], v[46:47], s[6:7]                    // 000000006510: D3B1402E 18000D2E
	v_exp_f32_e32 v44, v44                                     // 000000006518: 7E58412C
	v_exp_f32_e32 v45, v45                                     // 00000000651C: 7E5A412D
	v_exp_f32_e32 v46, v46                                     // 000000006520: 7E5C412E
	v_exp_f32_e32 v47, v47                                     // 000000006524: 7E5E412F
	buffer_load_dwordx4 a[92:95], v49, s[12:15], 0 offen offset:3072// 000000006528: E05C1C00 80835C31
	v_add_f32_e64 v44, v44, 1.0                                // 000000006530: D101002C 0001E52C
	v_add_f32_e64 v45, v45, 1.0                                // 000000006538: D101002D 0001E52D
	v_add_f32_e64 v46, v46, 1.0                                // 000000006540: D101002E 0001E52E
	v_add_f32_e64 v47, v47, 1.0                                // 000000006548: D101002F 0001E52F
	v_rcp_f32_e32 v44, v44                                     // 000000006550: 7E58452C
	v_rcp_f32_e32 v45, v45                                     // 000000006554: 7E5A452D
	v_rcp_f32_e32 v46, v46                                     // 000000006558: 7E5C452E
	v_rcp_f32_e32 v47, v47                                     // 00000000655C: 7E5E452F
	v_pk_mul_f32 v[172:173], v[172:173], v[44:45]              // 000000006560: D3B140AC 180259AC
	v_pk_mul_f32 v[174:175], v[174:175], v[46:47]              // 000000006568: D3B140AE 18025DAE
	s_waitcnt vmcnt(24)                                        // 000000006570: BF8C4F78
	buffer_load_dwordx4 a[96:99], v50, s[12:15], 0 offen       // 000000006574: E05C1000 80836032
	v_pk_mul_f32 v[44:45], v[176:177], v[176:177]              // 00000000657C: D3B1402C 180361B0
	v_pk_mul_f32 v[46:47], v[178:179], v[178:179]              // 000000006584: D3B1402E 180365B2
	v_pk_fma_f32 v[44:45], v[44:45], s[82:83], v[60:61]        // 00000000658C: D3B0402C 1CF0A52C
	v_pk_fma_f32 v[46:47], v[46:47], s[82:83], v[60:61]        // 000000006594: D3B0402E 1CF0A52E
	v_pk_mul_f32 v[44:45], v[44:45], v[176:177]                // 00000000659C: D3B1402C 1803612C
	v_pk_mul_f32 v[46:47], v[46:47], v[178:179]                // 0000000065A4: D3B1402E 1803652E
	v_pk_mul_f32 v[44:45], v[44:45], s[6:7]                    // 0000000065AC: D3B1402C 18000D2C
	v_pk_mul_f32 v[46:47], v[46:47], s[6:7]                    // 0000000065B4: D3B1402E 18000D2E
	v_exp_f32_e32 v44, v44                                     // 0000000065BC: 7E58412C
	v_exp_f32_e32 v45, v45                                     // 0000000065C0: 7E5A412D
	v_exp_f32_e32 v46, v46                                     // 0000000065C4: 7E5C412E
	v_exp_f32_e32 v47, v47                                     // 0000000065C8: 7E5E412F
	buffer_load_dwordx4 a[100:103], v50, s[12:15], 0 offen offset:1024// 0000000065CC: E05C1400 80836432
	v_add_f32_e64 v44, v44, 1.0                                // 0000000065D4: D101002C 0001E52C
	v_add_f32_e64 v45, v45, 1.0                                // 0000000065DC: D101002D 0001E52D
	v_add_f32_e64 v46, v46, 1.0                                // 0000000065E4: D101002E 0001E52E
	v_add_f32_e64 v47, v47, 1.0                                // 0000000065EC: D101002F 0001E52F
	v_rcp_f32_e32 v44, v44                                     // 0000000065F4: 7E58452C
	v_rcp_f32_e32 v45, v45                                     // 0000000065F8: 7E5A452D
	v_rcp_f32_e32 v46, v46                                     // 0000000065FC: 7E5C452E
	v_rcp_f32_e32 v47, v47                                     // 000000006600: 7E5E452F
	v_pk_mul_f32 v[176:177], v[176:177], v[44:45]              // 000000006604: D3B140B0 180259B0
	v_pk_mul_f32 v[178:179], v[178:179], v[46:47]              // 00000000660C: D3B140B2 18025DB2
	buffer_load_dwordx4 a[104:107], v50, s[12:15], 0 offen offset:2048// 000000006614: E05C1800 80836832
	v_pk_mul_f32 v[44:45], v[180:181], v[180:181]              // 00000000661C: D3B1402C 180369B4
	v_pk_mul_f32 v[46:47], v[182:183], v[182:183]              // 000000006624: D3B1402E 18036DB6
	v_pk_fma_f32 v[44:45], v[44:45], s[82:83], v[60:61]        // 00000000662C: D3B0402C 1CF0A52C
	v_pk_fma_f32 v[46:47], v[46:47], s[82:83], v[60:61]        // 000000006634: D3B0402E 1CF0A52E
	v_pk_mul_f32 v[44:45], v[44:45], v[180:181]                // 00000000663C: D3B1402C 1803692C
	v_pk_mul_f32 v[46:47], v[46:47], v[182:183]                // 000000006644: D3B1402E 18036D2E
	v_pk_mul_f32 v[44:45], v[44:45], s[6:7]                    // 00000000664C: D3B1402C 18000D2C
	v_pk_mul_f32 v[46:47], v[46:47], s[6:7]                    // 000000006654: D3B1402E 18000D2E
	v_exp_f32_e32 v44, v44                                     // 00000000665C: 7E58412C
	v_exp_f32_e32 v45, v45                                     // 000000006660: 7E5A412D
	v_exp_f32_e32 v46, v46                                     // 000000006664: 7E5C412E
	v_exp_f32_e32 v47, v47                                     // 000000006668: 7E5E412F
	buffer_load_dwordx4 a[108:111], v50, s[12:15], 0 offen offset:3072// 00000000666C: E05C1C00 80836C32
	v_add_f32_e64 v44, v44, 1.0                                // 000000006674: D101002C 0001E52C
	v_add_f32_e64 v45, v45, 1.0                                // 00000000667C: D101002D 0001E52D
	v_add_f32_e64 v46, v46, 1.0                                // 000000006684: D101002E 0001E52E
	v_add_f32_e64 v47, v47, 1.0                                // 00000000668C: D101002F 0001E52F
	v_rcp_f32_e32 v44, v44                                     // 000000006694: 7E58452C
	v_rcp_f32_e32 v45, v45                                     // 000000006698: 7E5A452D
	v_rcp_f32_e32 v46, v46                                     // 00000000669C: 7E5C452E
	v_rcp_f32_e32 v47, v47                                     // 0000000066A0: 7E5E452F
	v_pk_mul_f32 v[180:181], v[180:181], v[44:45]              // 0000000066A4: D3B140B4 180259B4
	v_pk_mul_f32 v[182:183], v[182:183], v[46:47]              // 0000000066AC: D3B140B6 18025DB6
	buffer_load_dwordx4 a[112:115], v51, s[12:15], 0 offen     // 0000000066B4: E05C1000 80837033
	v_pk_mul_f32 v[44:45], v[184:185], v[184:185]              // 0000000066BC: D3B1402C 180371B8
	v_pk_mul_f32 v[46:47], v[186:187], v[186:187]              // 0000000066C4: D3B1402E 180375BA
	v_pk_fma_f32 v[44:45], v[44:45], s[82:83], v[60:61]        // 0000000066CC: D3B0402C 1CF0A52C
	v_pk_fma_f32 v[46:47], v[46:47], s[82:83], v[60:61]        // 0000000066D4: D3B0402E 1CF0A52E
	v_pk_mul_f32 v[44:45], v[44:45], v[184:185]                // 0000000066DC: D3B1402C 1803712C
	v_pk_mul_f32 v[46:47], v[46:47], v[186:187]                // 0000000066E4: D3B1402E 1803752E
	v_pk_mul_f32 v[44:45], v[44:45], s[6:7]                    // 0000000066EC: D3B1402C 18000D2C
	v_pk_mul_f32 v[46:47], v[46:47], s[6:7]                    // 0000000066F4: D3B1402E 18000D2E
	v_exp_f32_e32 v44, v44                                     // 0000000066FC: 7E58412C
	v_exp_f32_e32 v45, v45                                     // 000000006700: 7E5A412D
	v_exp_f32_e32 v46, v46                                     // 000000006704: 7E5C412E
	v_exp_f32_e32 v47, v47                                     // 000000006708: 7E5E412F
	buffer_load_dwordx4 a[116:119], v51, s[12:15], 0 offen offset:1024// 00000000670C: E05C1400 80837433
	v_add_f32_e64 v44, v44, 1.0                                // 000000006714: D101002C 0001E52C
	v_add_f32_e64 v45, v45, 1.0                                // 00000000671C: D101002D 0001E52D
	v_add_f32_e64 v46, v46, 1.0                                // 000000006724: D101002E 0001E52E
	v_add_f32_e64 v47, v47, 1.0                                // 00000000672C: D101002F 0001E52F
	v_rcp_f32_e32 v44, v44                                     // 000000006734: 7E58452C
	v_rcp_f32_e32 v45, v45                                     // 000000006738: 7E5A452D
	v_rcp_f32_e32 v46, v46                                     // 00000000673C: 7E5C452E
	v_rcp_f32_e32 v47, v47                                     // 000000006740: 7E5E452F
	v_pk_mul_f32 v[184:185], v[184:185], v[44:45]              // 000000006744: D3B140B8 180259B8
	v_pk_mul_f32 v[186:187], v[186:187], v[46:47]              // 00000000674C: D3B140BA 18025DBA
	buffer_load_dwordx4 a[120:123], v51, s[12:15], 0 offen offset:2048// 000000006754: E05C1800 80837833
	v_pk_mul_f32 v[44:45], v[188:189], v[188:189]              // 00000000675C: D3B1402C 180379BC
	v_pk_mul_f32 v[46:47], v[190:191], v[190:191]              // 000000006764: D3B1402E 18037DBE
	v_pk_fma_f32 v[44:45], v[44:45], s[82:83], v[60:61]        // 00000000676C: D3B0402C 1CF0A52C
	v_pk_fma_f32 v[46:47], v[46:47], s[82:83], v[60:61]        // 000000006774: D3B0402E 1CF0A52E
	v_pk_mul_f32 v[44:45], v[44:45], v[188:189]                // 00000000677C: D3B1402C 1803792C
	v_pk_mul_f32 v[46:47], v[46:47], v[190:191]                // 000000006784: D3B1402E 18037D2E
	v_pk_mul_f32 v[44:45], v[44:45], s[6:7]                    // 00000000678C: D3B1402C 18000D2C
	v_pk_mul_f32 v[46:47], v[46:47], s[6:7]                    // 000000006794: D3B1402E 18000D2E
	v_exp_f32_e32 v44, v44                                     // 00000000679C: 7E58412C
	v_exp_f32_e32 v45, v45                                     // 0000000067A0: 7E5A412D
	v_exp_f32_e32 v46, v46                                     // 0000000067A4: 7E5C412E
	v_exp_f32_e32 v47, v47                                     // 0000000067A8: 7E5E412F
	buffer_load_dwordx4 a[124:127], v51, s[12:15], 0 offen offset:3072// 0000000067AC: E05C1C00 80837C33
	v_add_f32_e64 v44, v44, 1.0                                // 0000000067B4: D101002C 0001E52C
	v_add_f32_e64 v45, v45, 1.0                                // 0000000067BC: D101002D 0001E52D
	v_add_f32_e64 v46, v46, 1.0                                // 0000000067C4: D101002E 0001E52E
	v_add_f32_e64 v47, v47, 1.0                                // 0000000067CC: D101002F 0001E52F
	v_rcp_f32_e32 v44, v44                                     // 0000000067D4: 7E58452C
	v_rcp_f32_e32 v45, v45                                     // 0000000067D8: 7E5A452D
	v_rcp_f32_e32 v46, v46                                     // 0000000067DC: 7E5C452E
	v_rcp_f32_e32 v47, v47                                     // 0000000067E0: 7E5E452F
	v_pk_mul_f32 v[188:189], v[188:189], v[44:45]              // 0000000067E4: D3B140BC 180259BC
	v_pk_mul_f32 v[190:191], v[190:191], v[46:47]              // 0000000067EC: D3B140BE 18025DBE
	v_mul_f32_dpp v128, v18, v128 row_newbcast:0 row_mask:0xf bank_mask:0xf// 0000000067F4: 0B0100FA FF015012
	v_mul_f32_dpp v129, v18, v129 row_newbcast:1 row_mask:0xf bank_mask:0xf// 0000000067FC: 0B0302FA FF015112
	v_mul_f32_dpp v130, v18, v130 row_newbcast:2 row_mask:0xf bank_mask:0xf// 000000006804: 0B0504FA FF015212
	v_mul_f32_dpp v131, v18, v131 row_newbcast:3 row_mask:0xf bank_mask:0xf// 00000000680C: 0B0706FA FF015312
	v_mul_f32_dpp v132, v18, v132 row_newbcast:0 row_mask:0xf bank_mask:0xf// 000000006814: 0B0908FA FF015012
	v_mul_f32_dpp v133, v18, v133 row_newbcast:1 row_mask:0xf bank_mask:0xf// 00000000681C: 0B0B0AFA FF015112
	v_mul_f32_dpp v134, v18, v134 row_newbcast:2 row_mask:0xf bank_mask:0xf// 000000006824: 0B0D0CFA FF015212
	v_mul_f32_dpp v135, v18, v135 row_newbcast:3 row_mask:0xf bank_mask:0xf// 00000000682C: 0B0F0EFA FF015312
	v_mul_f32_dpp v136, v18, v136 row_newbcast:4 row_mask:0xf bank_mask:0xf// 000000006834: 0B1110FA FF015412
	v_mul_f32_dpp v137, v18, v137 row_newbcast:5 row_mask:0xf bank_mask:0xf// 00000000683C: 0B1312FA FF015512
	v_mul_f32_dpp v138, v18, v138 row_newbcast:6 row_mask:0xf bank_mask:0xf// 000000006844: 0B1514FA FF015612
	v_mul_f32_dpp v139, v18, v139 row_newbcast:7 row_mask:0xf bank_mask:0xf// 00000000684C: 0B1716FA FF015712
	v_mul_f32_dpp v140, v18, v140 row_newbcast:4 row_mask:0xf bank_mask:0xf// 000000006854: 0B1918FA FF015412
	v_mul_f32_dpp v141, v18, v141 row_newbcast:5 row_mask:0xf bank_mask:0xf// 00000000685C: 0B1B1AFA FF015512
	v_mul_f32_dpp v142, v18, v142 row_newbcast:6 row_mask:0xf bank_mask:0xf// 000000006864: 0B1D1CFA FF015612
	v_mul_f32_dpp v143, v18, v143 row_newbcast:7 row_mask:0xf bank_mask:0xf// 00000000686C: 0B1F1EFA FF015712
	v_mul_f32_dpp v144, v18, v144 row_newbcast:8 row_mask:0xf bank_mask:0xf// 000000006874: 0B2120FA FF015812
	v_mul_f32_dpp v145, v18, v145 row_newbcast:9 row_mask:0xf bank_mask:0xf// 00000000687C: 0B2322FA FF015912
	v_mul_f32_dpp v146, v18, v146 row_newbcast:10 row_mask:0xf bank_mask:0xf// 000000006884: 0B2524FA FF015A12
	v_mul_f32_dpp v147, v18, v147 row_newbcast:11 row_mask:0xf bank_mask:0xf// 00000000688C: 0B2726FA FF015B12
	v_mul_f32_dpp v148, v18, v148 row_newbcast:8 row_mask:0xf bank_mask:0xf// 000000006894: 0B2928FA FF015812
	v_mul_f32_dpp v149, v18, v149 row_newbcast:9 row_mask:0xf bank_mask:0xf// 00000000689C: 0B2B2AFA FF015912
	v_mul_f32_dpp v150, v18, v150 row_newbcast:10 row_mask:0xf bank_mask:0xf// 0000000068A4: 0B2D2CFA FF015A12
	v_mul_f32_dpp v151, v18, v151 row_newbcast:11 row_mask:0xf bank_mask:0xf// 0000000068AC: 0B2F2EFA FF015B12
	v_mul_f32_dpp v152, v18, v152 row_newbcast:12 row_mask:0xf bank_mask:0xf// 0000000068B4: 0B3130FA FF015C12
	v_mul_f32_dpp v153, v18, v153 row_newbcast:13 row_mask:0xf bank_mask:0xf// 0000000068BC: 0B3332FA FF015D12
	v_mul_f32_dpp v154, v18, v154 row_newbcast:14 row_mask:0xf bank_mask:0xf// 0000000068C4: 0B3534FA FF015E12
	v_mul_f32_dpp v155, v18, v155 row_newbcast:15 row_mask:0xf bank_mask:0xf// 0000000068CC: 0B3736FA FF015F12
	v_mul_f32_dpp v156, v18, v156 row_newbcast:12 row_mask:0xf bank_mask:0xf// 0000000068D4: 0B3938FA FF015C12
	v_mul_f32_dpp v157, v18, v157 row_newbcast:13 row_mask:0xf bank_mask:0xf// 0000000068DC: 0B3B3AFA FF015D12
	v_mul_f32_dpp v158, v18, v158 row_newbcast:14 row_mask:0xf bank_mask:0xf// 0000000068E4: 0B3D3CFA FF015E12
	v_mul_f32_dpp v159, v18, v159 row_newbcast:15 row_mask:0xf bank_mask:0xf// 0000000068EC: 0B3F3EFA FF015F12
	v_mul_f32_dpp v160, v19, v160 row_newbcast:0 row_mask:0xf bank_mask:0xf// 0000000068F4: 0B4140FA FF015013
	v_mul_f32_dpp v161, v19, v161 row_newbcast:1 row_mask:0xf bank_mask:0xf// 0000000068FC: 0B4342FA FF015113
	v_mul_f32_dpp v162, v19, v162 row_newbcast:2 row_mask:0xf bank_mask:0xf// 000000006904: 0B4544FA FF015213
	v_mul_f32_dpp v163, v19, v163 row_newbcast:3 row_mask:0xf bank_mask:0xf// 00000000690C: 0B4746FA FF015313
	v_mul_f32_dpp v164, v19, v164 row_newbcast:0 row_mask:0xf bank_mask:0xf// 000000006914: 0B4948FA FF015013
	v_mul_f32_dpp v165, v19, v165 row_newbcast:1 row_mask:0xf bank_mask:0xf// 00000000691C: 0B4B4AFA FF015113
	v_mul_f32_dpp v166, v19, v166 row_newbcast:2 row_mask:0xf bank_mask:0xf// 000000006924: 0B4D4CFA FF015213
	v_mul_f32_dpp v167, v19, v167 row_newbcast:3 row_mask:0xf bank_mask:0xf// 00000000692C: 0B4F4EFA FF015313
	v_mul_f32_dpp v168, v19, v168 row_newbcast:4 row_mask:0xf bank_mask:0xf// 000000006934: 0B5150FA FF015413
	v_mul_f32_dpp v169, v19, v169 row_newbcast:5 row_mask:0xf bank_mask:0xf// 00000000693C: 0B5352FA FF015513
	v_mul_f32_dpp v170, v19, v170 row_newbcast:6 row_mask:0xf bank_mask:0xf// 000000006944: 0B5554FA FF015613
	v_mul_f32_dpp v171, v19, v171 row_newbcast:7 row_mask:0xf bank_mask:0xf// 00000000694C: 0B5756FA FF015713
	v_mul_f32_dpp v172, v19, v172 row_newbcast:4 row_mask:0xf bank_mask:0xf// 000000006954: 0B5958FA FF015413
	v_mul_f32_dpp v173, v19, v173 row_newbcast:5 row_mask:0xf bank_mask:0xf// 00000000695C: 0B5B5AFA FF015513
	v_mul_f32_dpp v174, v19, v174 row_newbcast:6 row_mask:0xf bank_mask:0xf// 000000006964: 0B5D5CFA FF015613
	v_mul_f32_dpp v175, v19, v175 row_newbcast:7 row_mask:0xf bank_mask:0xf// 00000000696C: 0B5F5EFA FF015713
	v_mul_f32_dpp v176, v19, v176 row_newbcast:8 row_mask:0xf bank_mask:0xf// 000000006974: 0B6160FA FF015813
	v_mul_f32_dpp v177, v19, v177 row_newbcast:9 row_mask:0xf bank_mask:0xf// 00000000697C: 0B6362FA FF015913
	v_mul_f32_dpp v178, v19, v178 row_newbcast:10 row_mask:0xf bank_mask:0xf// 000000006984: 0B6564FA FF015A13
	v_mul_f32_dpp v179, v19, v179 row_newbcast:11 row_mask:0xf bank_mask:0xf// 00000000698C: 0B6766FA FF015B13
	v_mul_f32_dpp v180, v19, v180 row_newbcast:8 row_mask:0xf bank_mask:0xf// 000000006994: 0B6968FA FF015813
	v_mul_f32_dpp v181, v19, v181 row_newbcast:9 row_mask:0xf bank_mask:0xf// 00000000699C: 0B6B6AFA FF015913
	v_mul_f32_dpp v182, v19, v182 row_newbcast:10 row_mask:0xf bank_mask:0xf// 0000000069A4: 0B6D6CFA FF015A13
	v_mul_f32_dpp v183, v19, v183 row_newbcast:11 row_mask:0xf bank_mask:0xf// 0000000069AC: 0B6F6EFA FF015B13
	v_mul_f32_dpp v184, v19, v184 row_newbcast:12 row_mask:0xf bank_mask:0xf// 0000000069B4: 0B7170FA FF015C13
	v_mul_f32_dpp v185, v19, v185 row_newbcast:13 row_mask:0xf bank_mask:0xf// 0000000069BC: 0B7372FA FF015D13
	v_mul_f32_dpp v186, v19, v186 row_newbcast:14 row_mask:0xf bank_mask:0xf// 0000000069C4: 0B7574FA FF015E13
	v_mul_f32_dpp v187, v19, v187 row_newbcast:15 row_mask:0xf bank_mask:0xf// 0000000069CC: 0B7776FA FF015F13
	v_mul_f32_dpp v188, v19, v188 row_newbcast:12 row_mask:0xf bank_mask:0xf// 0000000069D4: 0B7978FA FF015C13
	v_mul_f32_dpp v189, v19, v189 row_newbcast:13 row_mask:0xf bank_mask:0xf// 0000000069DC: 0B7B7AFA FF015D13
	v_mul_f32_dpp v190, v19, v190 row_newbcast:14 row_mask:0xf bank_mask:0xf// 0000000069E4: 0B7D7CFA FF015E13
	v_mul_f32_dpp v191, v19, v191 row_newbcast:15 row_mask:0xf bank_mask:0xf// 0000000069EC: 0B7F7EFA FF015F13
	buffer_load_dword v12, v5, s[16:19], 0 offen               // 0000000069F4: E0501000 80040C05
	v_mov_b32_e32 v22, 0x358637bd                              // 0000000069FC: 7E2C02FF 358637BD
	v_mov_b32_e32 v23, 0x358637bd                              // 000000006A04: 7E2E02FF 358637BD
	v_max3_f32 v22, |v128|, |v129|, v22                        // 000000006A0C: D1D30316 045B0380
	v_max3_f32 v22, |v130|, |v131|, v22                        // 000000006A14: D1D30316 045B0782
	v_max3_f32 v23, |v132|, |v133|, v23                        // 000000006A1C: D1D30317 045F0B84
	v_max3_f32 v23, |v134|, |v135|, v23                        // 000000006A24: D1D30317 045F0F86
	v_max3_f32 v22, |v136|, |v137|, v22                        // 000000006A2C: D1D30316 045B1388
	v_max3_f32 v22, |v138|, |v139|, v22                        // 000000006A34: D1D30316 045B178A
	v_max3_f32 v23, |v140|, |v141|, v23                        // 000000006A3C: D1D30317 045F1B8C
	v_max3_f32 v23, |v142|, |v143|, v23                        // 000000006A44: D1D30317 045F1F8E
	v_max3_f32 v22, |v144|, |v145|, v22                        // 000000006A4C: D1D30316 045B2390
	v_max3_f32 v22, |v146|, |v147|, v22                        // 000000006A54: D1D30316 045B2792
	v_max3_f32 v23, |v148|, |v149|, v23                        // 000000006A5C: D1D30317 045F2B94
	v_max3_f32 v23, |v150|, |v151|, v23                        // 000000006A64: D1D30317 045F2F96
	v_max3_f32 v22, |v152|, |v153|, v22                        // 000000006A6C: D1D30316 045B3398
	v_max3_f32 v22, |v154|, |v155|, v22                        // 000000006A74: D1D30316 045B379A
	v_max3_f32 v23, |v156|, |v157|, v23                        // 000000006A7C: D1D30317 045F3B9C
	v_max3_f32 v23, |v158|, |v159|, v23                        // 000000006A84: D1D30317 045F3F9E
	v_max3_f32 v22, |v160|, |v161|, v22                        // 000000006A8C: D1D30316 045B43A0
	v_max3_f32 v22, |v162|, |v163|, v22                        // 000000006A94: D1D30316 045B47A2
	v_max3_f32 v23, |v164|, |v165|, v23                        // 000000006A9C: D1D30317 045F4BA4
	v_max3_f32 v23, |v166|, |v167|, v23                        // 000000006AA4: D1D30317 045F4FA6
	v_max3_f32 v22, |v168|, |v169|, v22                        // 000000006AAC: D1D30316 045B53A8
	v_max3_f32 v22, |v170|, |v171|, v22                        // 000000006AB4: D1D30316 045B57AA
	v_max3_f32 v23, |v172|, |v173|, v23                        // 000000006ABC: D1D30317 045F5BAC
	v_max3_f32 v23, |v174|, |v175|, v23                        // 000000006AC4: D1D30317 045F5FAE
	v_max3_f32 v22, |v176|, |v177|, v22                        // 000000006ACC: D1D30316 045B63B0
	v_max3_f32 v22, |v178|, |v179|, v22                        // 000000006AD4: D1D30316 045B67B2
	v_max3_f32 v23, |v180|, |v181|, v23                        // 000000006ADC: D1D30317 045F6BB4
	v_max3_f32 v23, |v182|, |v183|, v23                        // 000000006AE4: D1D30317 045F6FB6
	v_max3_f32 v22, |v184|, |v185|, v22                        // 000000006AEC: D1D30316 045B73B8
	v_max3_f32 v22, |v186|, |v187|, v22                        // 000000006AF4: D1D30316 045B77BA
	v_max3_f32 v23, |v188|, |v189|, v23                        // 000000006AFC: D1D30317 045F7BBC
	v_max3_f32 v23, |v190|, |v191|, v23                        // 000000006B04: D1D30317 045F7FBE
	v_lshlrev_b32_e32 v44, 3, v0                               // 000000006B0C: 24580083
	s_mul_i32 s60, 0x200, s5                                   // 000000006B10: 923C05FF 00000200
	v_add_u32_e32 v44, s60, v44                                // 000000006B18: 6858583C
	ds_write_b64 v44, v[22:23]                                 // 000000006B1C: D89A0000 0000162C
	s_waitcnt lgkmcnt(0)                                       // 000000006B24: BF8CC07F
	s_barrier                                                  // 000000006B28: BF8A0000
	v_and_b32_e32 v44, 15, v0                                  // 000000006B2C: 2658008F
	v_lshlrev_b32_e32 v44, 3, v44                              // 000000006B30: 24585883
	ds_read_b64 v[96:97], v44                                  // 000000006B34: D8EC0000 6000002C
	ds_read_b64 v[98:99], v44 offset:128                       // 000000006B3C: D8EC0080 6200002C
	ds_read_b64 v[100:101], v44 offset:256                     // 000000006B44: D8EC0100 6400002C
	ds_read_b64 v[102:103], v44 offset:384                     // 000000006B4C: D8EC0180 6600002C
	ds_read_b64 v[104:105], v44 offset:512                     // 000000006B54: D8EC0200 6800002C
	ds_read_b64 v[106:107], v44 offset:640                     // 000000006B5C: D8EC0280 6A00002C
	ds_read_b64 v[108:109], v44 offset:768                     // 000000006B64: D8EC0300 6C00002C
	ds_read_b64 v[110:111], v44 offset:896                     // 000000006B6C: D8EC0380 6E00002C
	ds_read_b64 v[112:113], v44 offset:1024                    // 000000006B74: D8EC0400 7000002C
	ds_read_b64 v[114:115], v44 offset:1152                    // 000000006B7C: D8EC0480 7200002C
	ds_read_b64 v[116:117], v44 offset:1280                    // 000000006B84: D8EC0500 7400002C
	ds_read_b64 v[118:119], v44 offset:1408                    // 000000006B8C: D8EC0580 7600002C
	ds_read_b64 v[120:121], v44 offset:1536                    // 000000006B94: D8EC0600 7800002C
	ds_read_b64 v[122:123], v44 offset:1664                    // 000000006B9C: D8EC0680 7A00002C
	ds_read_b64 v[124:125], v44 offset:1792                    // 000000006BA4: D8EC0700 7C00002C
	ds_read_b64 v[126:127], v44 offset:1920                    // 000000006BAC: D8EC0780 7E00002C
	s_waitcnt lgkmcnt(0)                                       // 000000006BB4: BF8CC07F
	v_max3_f32 v22, |v96|, |v98|, v22                          // 000000006BB8: D1D30316 045AC560
	v_max3_f32 v23, |v97|, |v99|, v23                          // 000000006BC0: D1D30317 045EC761
	v_max3_f32 v22, |v100|, |v102|, v22                        // 000000006BC8: D1D30316 045ACD64
	v_max3_f32 v23, |v101|, |v103|, v23                        // 000000006BD0: D1D30317 045ECF65
	v_max3_f32 v22, |v104|, |v106|, v22                        // 000000006BD8: D1D30316 045AD568
	v_max3_f32 v23, |v105|, |v107|, v23                        // 000000006BE0: D1D30317 045ED769
	v_max3_f32 v22, |v108|, |v110|, v22                        // 000000006BE8: D1D30316 045ADD6C
	v_max3_f32 v23, |v109|, |v111|, v23                        // 000000006BF0: D1D30317 045EDF6D
	v_max3_f32 v22, |v112|, |v114|, v22                        // 000000006BF8: D1D30316 045AE570
	v_max3_f32 v23, |v113|, |v115|, v23                        // 000000006C00: D1D30317 045EE771
	v_max3_f32 v22, |v116|, |v118|, v22                        // 000000006C08: D1D30316 045AED74
	v_max3_f32 v23, |v117|, |v119|, v23                        // 000000006C10: D1D30317 045EEF75
	v_max3_f32 v22, |v120|, |v122|, v22                        // 000000006C18: D1D30316 045AF578
	v_max3_f32 v23, |v121|, |v123|, v23                        // 000000006C20: D1D30317 045EF779
	v_max3_f32 v22, |v124|, |v126|, v22                        // 000000006C28: D1D30316 045AFD7C
	v_max3_f32 v23, |v125|, |v127|, v23                        // 000000006C30: D1D30317 045EFF7D
	v_rcp_f32_e32 v22, v22                                     // 000000006C38: 7E2C4516
	v_rcp_f32_e32 v23, v23                                     // 000000006C3C: 7E2E4517
	v_mul_f32_e32 v22, 0x42fe0000, v22                         // 000000006C40: 0A2C2CFF 42FE0000
	v_mul_f32_e32 v23, 0x42fe0000, v23                         // 000000006C48: 0A2E2EFF 42FE0000
	v_mul_f32_e32 v128, v22, v128                              // 000000006C50: 0B010116
	v_mul_f32_e32 v129, v22, v129                              // 000000006C54: 0B030316
	v_mul_f32_e32 v130, v22, v130                              // 000000006C58: 0B050516
	v_mul_f32_e32 v131, v22, v131                              // 000000006C5C: 0B070716
	v_cvt_i32_f32_e32 v128, v128                               // 000000006C60: 7F001180
	v_cvt_i32_f32_e32 v129, v129                               // 000000006C64: 7F021181
	v_cvt_i32_f32_e32 v130, v130                               // 000000006C68: 7F041182
	v_cvt_i32_f32_e32 v131, v131                               // 000000006C6C: 7F061183
	v_perm_b32 v128, v129, v128, s53                           // 000000006C70: D1ED0080 00D70181
	v_perm_b32 v128, v130, v128, s54                           // 000000006C78: D1ED0080 00DB0182
	v_perm_b32 v128, v131, v128, s55                           // 000000006C80: D1ED0080 00DF0183
	v_mul_f32_e32 v132, v23, v132                              // 000000006C88: 0B090917
	v_mul_f32_e32 v133, v23, v133                              // 000000006C8C: 0B0B0B17
	v_mul_f32_e32 v134, v23, v134                              // 000000006C90: 0B0D0D17
	v_mul_f32_e32 v135, v23, v135                              // 000000006C94: 0B0F0F17
	v_cvt_i32_f32_e32 v132, v132                               // 000000006C98: 7F081184
	v_cvt_i32_f32_e32 v133, v133                               // 000000006C9C: 7F0A1185
	v_cvt_i32_f32_e32 v134, v134                               // 000000006CA0: 7F0C1186
	v_cvt_i32_f32_e32 v135, v135                               // 000000006CA4: 7F0E1187
	v_perm_b32 v129, v133, v132, s53                           // 000000006CA8: D1ED0081 00D70985
	v_perm_b32 v129, v134, v129, s54                           // 000000006CB0: D1ED0081 00DB0386
	v_perm_b32 v129, v135, v129, s55                           // 000000006CB8: D1ED0081 00DF0387
	v_mul_f32_e32 v136, v22, v136                              // 000000006CC0: 0B111116
	v_mul_f32_e32 v137, v22, v137                              // 000000006CC4: 0B131316
	v_mul_f32_e32 v138, v22, v138                              // 000000006CC8: 0B151516
	v_mul_f32_e32 v139, v22, v139                              // 000000006CCC: 0B171716
	v_cvt_i32_f32_e32 v136, v136                               // 000000006CD0: 7F101188
	v_cvt_i32_f32_e32 v137, v137                               // 000000006CD4: 7F121189
	v_cvt_i32_f32_e32 v138, v138                               // 000000006CD8: 7F14118A
	v_cvt_i32_f32_e32 v139, v139                               // 000000006CDC: 7F16118B
	v_perm_b32 v130, v137, v136, s53                           // 000000006CE0: D1ED0082 00D71189
	v_perm_b32 v130, v138, v130, s54                           // 000000006CE8: D1ED0082 00DB058A
	v_perm_b32 v130, v139, v130, s55                           // 000000006CF0: D1ED0082 00DF058B
	v_mul_f32_e32 v140, v23, v140                              // 000000006CF8: 0B191917
	v_mul_f32_e32 v141, v23, v141                              // 000000006CFC: 0B1B1B17
	v_mul_f32_e32 v142, v23, v142                              // 000000006D00: 0B1D1D17
	v_mul_f32_e32 v143, v23, v143                              // 000000006D04: 0B1F1F17
	v_cvt_i32_f32_e32 v140, v140                               // 000000006D08: 7F18118C
	v_cvt_i32_f32_e32 v141, v141                               // 000000006D0C: 7F1A118D
	v_cvt_i32_f32_e32 v142, v142                               // 000000006D10: 7F1C118E
	v_cvt_i32_f32_e32 v143, v143                               // 000000006D14: 7F1E118F
	v_perm_b32 v131, v141, v140, s53                           // 000000006D18: D1ED0083 00D7198D
	v_perm_b32 v131, v142, v131, s54                           // 000000006D20: D1ED0083 00DB078E
	v_perm_b32 v131, v143, v131, s55                           // 000000006D28: D1ED0083 00DF078F
	v_mul_f32_e32 v144, v22, v144                              // 000000006D30: 0B212116
	v_mul_f32_e32 v145, v22, v145                              // 000000006D34: 0B232316
	v_mul_f32_e32 v146, v22, v146                              // 000000006D38: 0B252516
	v_mul_f32_e32 v147, v22, v147                              // 000000006D3C: 0B272716
	v_cvt_i32_f32_e32 v144, v144                               // 000000006D40: 7F201190
	v_cvt_i32_f32_e32 v145, v145                               // 000000006D44: 7F221191
	v_cvt_i32_f32_e32 v146, v146                               // 000000006D48: 7F241192
	v_cvt_i32_f32_e32 v147, v147                               // 000000006D4C: 7F261193
	v_perm_b32 v132, v145, v144, s53                           // 000000006D50: D1ED0084 00D72191
	v_perm_b32 v132, v146, v132, s54                           // 000000006D58: D1ED0084 00DB0992
	v_perm_b32 v132, v147, v132, s55                           // 000000006D60: D1ED0084 00DF0993
	v_mul_f32_e32 v148, v23, v148                              // 000000006D68: 0B292917
	v_mul_f32_e32 v149, v23, v149                              // 000000006D6C: 0B2B2B17
	v_mul_f32_e32 v150, v23, v150                              // 000000006D70: 0B2D2D17
	v_mul_f32_e32 v151, v23, v151                              // 000000006D74: 0B2F2F17
	v_cvt_i32_f32_e32 v148, v148                               // 000000006D78: 7F281194
	v_cvt_i32_f32_e32 v149, v149                               // 000000006D7C: 7F2A1195
	v_cvt_i32_f32_e32 v150, v150                               // 000000006D80: 7F2C1196
	v_cvt_i32_f32_e32 v151, v151                               // 000000006D84: 7F2E1197
	v_perm_b32 v133, v149, v148, s53                           // 000000006D88: D1ED0085 00D72995
	v_perm_b32 v133, v150, v133, s54                           // 000000006D90: D1ED0085 00DB0B96
	v_perm_b32 v133, v151, v133, s55                           // 000000006D98: D1ED0085 00DF0B97
	v_mul_f32_e32 v152, v22, v152                              // 000000006DA0: 0B313116
	v_mul_f32_e32 v153, v22, v153                              // 000000006DA4: 0B333316
	v_mul_f32_e32 v154, v22, v154                              // 000000006DA8: 0B353516
	v_mul_f32_e32 v155, v22, v155                              // 000000006DAC: 0B373716
	v_cvt_i32_f32_e32 v152, v152                               // 000000006DB0: 7F301198
	v_cvt_i32_f32_e32 v153, v153                               // 000000006DB4: 7F321199
	v_cvt_i32_f32_e32 v154, v154                               // 000000006DB8: 7F34119A
	v_cvt_i32_f32_e32 v155, v155                               // 000000006DBC: 7F36119B
	v_perm_b32 v134, v153, v152, s53                           // 000000006DC0: D1ED0086 00D73199
	v_perm_b32 v134, v154, v134, s54                           // 000000006DC8: D1ED0086 00DB0D9A
	v_perm_b32 v134, v155, v134, s55                           // 000000006DD0: D1ED0086 00DF0D9B
	v_mul_f32_e32 v156, v23, v156                              // 000000006DD8: 0B393917
	v_mul_f32_e32 v157, v23, v157                              // 000000006DDC: 0B3B3B17
	v_mul_f32_e32 v158, v23, v158                              // 000000006DE0: 0B3D3D17
	v_mul_f32_e32 v159, v23, v159                              // 000000006DE4: 0B3F3F17
	v_cvt_i32_f32_e32 v156, v156                               // 000000006DE8: 7F38119C
	v_cvt_i32_f32_e32 v157, v157                               // 000000006DEC: 7F3A119D
	v_cvt_i32_f32_e32 v158, v158                               // 000000006DF0: 7F3C119E
	v_cvt_i32_f32_e32 v159, v159                               // 000000006DF4: 7F3E119F
	v_perm_b32 v135, v157, v156, s53                           // 000000006DF8: D1ED0087 00D7399D
	v_perm_b32 v135, v158, v135, s54                           // 000000006E00: D1ED0087 00DB0F9E
	v_perm_b32 v135, v159, v135, s55                           // 000000006E08: D1ED0087 00DF0F9F
	v_mul_f32_e32 v160, v22, v160                              // 000000006E10: 0B414116
	v_mul_f32_e32 v161, v22, v161                              // 000000006E14: 0B434316
	v_mul_f32_e32 v162, v22, v162                              // 000000006E18: 0B454516
	v_mul_f32_e32 v163, v22, v163                              // 000000006E1C: 0B474716
	v_cvt_i32_f32_e32 v160, v160                               // 000000006E20: 7F4011A0
	v_cvt_i32_f32_e32 v161, v161                               // 000000006E24: 7F4211A1
	v_cvt_i32_f32_e32 v162, v162                               // 000000006E28: 7F4411A2
	v_cvt_i32_f32_e32 v163, v163                               // 000000006E2C: 7F4611A3
	v_perm_b32 v136, v161, v160, s53                           // 000000006E30: D1ED0088 00D741A1
	v_perm_b32 v136, v162, v136, s54                           // 000000006E38: D1ED0088 00DB11A2
	v_perm_b32 v136, v163, v136, s55                           // 000000006E40: D1ED0088 00DF11A3
	v_mul_f32_e32 v164, v23, v164                              // 000000006E48: 0B494917
	v_mul_f32_e32 v165, v23, v165                              // 000000006E4C: 0B4B4B17
	v_mul_f32_e32 v166, v23, v166                              // 000000006E50: 0B4D4D17
	v_mul_f32_e32 v167, v23, v167                              // 000000006E54: 0B4F4F17
	v_cvt_i32_f32_e32 v164, v164                               // 000000006E58: 7F4811A4
	v_cvt_i32_f32_e32 v165, v165                               // 000000006E5C: 7F4A11A5
	v_cvt_i32_f32_e32 v166, v166                               // 000000006E60: 7F4C11A6
	v_cvt_i32_f32_e32 v167, v167                               // 000000006E64: 7F4E11A7
	v_perm_b32 v137, v165, v164, s53                           // 000000006E68: D1ED0089 00D749A5
	v_perm_b32 v137, v166, v137, s54                           // 000000006E70: D1ED0089 00DB13A6
	v_perm_b32 v137, v167, v137, s55                           // 000000006E78: D1ED0089 00DF13A7
	v_mul_f32_e32 v168, v22, v168                              // 000000006E80: 0B515116
	v_mul_f32_e32 v169, v22, v169                              // 000000006E84: 0B535316
	v_mul_f32_e32 v170, v22, v170                              // 000000006E88: 0B555516
	v_mul_f32_e32 v171, v22, v171                              // 000000006E8C: 0B575716
	v_cvt_i32_f32_e32 v168, v168                               // 000000006E90: 7F5011A8
	v_cvt_i32_f32_e32 v169, v169                               // 000000006E94: 7F5211A9
	v_cvt_i32_f32_e32 v170, v170                               // 000000006E98: 7F5411AA
	v_cvt_i32_f32_e32 v171, v171                               // 000000006E9C: 7F5611AB
	v_perm_b32 v138, v169, v168, s53                           // 000000006EA0: D1ED008A 00D751A9
	v_perm_b32 v138, v170, v138, s54                           // 000000006EA8: D1ED008A 00DB15AA
	v_perm_b32 v138, v171, v138, s55                           // 000000006EB0: D1ED008A 00DF15AB
	v_mul_f32_e32 v172, v23, v172                              // 000000006EB8: 0B595917
	v_mul_f32_e32 v173, v23, v173                              // 000000006EBC: 0B5B5B17
	v_mul_f32_e32 v174, v23, v174                              // 000000006EC0: 0B5D5D17
	v_mul_f32_e32 v175, v23, v175                              // 000000006EC4: 0B5F5F17
	v_cvt_i32_f32_e32 v172, v172                               // 000000006EC8: 7F5811AC
	v_cvt_i32_f32_e32 v173, v173                               // 000000006ECC: 7F5A11AD
	v_cvt_i32_f32_e32 v174, v174                               // 000000006ED0: 7F5C11AE
	v_cvt_i32_f32_e32 v175, v175                               // 000000006ED4: 7F5E11AF
	v_perm_b32 v139, v173, v172, s53                           // 000000006ED8: D1ED008B 00D759AD
	v_perm_b32 v139, v174, v139, s54                           // 000000006EE0: D1ED008B 00DB17AE
	v_perm_b32 v139, v175, v139, s55                           // 000000006EE8: D1ED008B 00DF17AF
	v_mul_f32_e32 v176, v22, v176                              // 000000006EF0: 0B616116
	v_mul_f32_e32 v177, v22, v177                              // 000000006EF4: 0B636316
	v_mul_f32_e32 v178, v22, v178                              // 000000006EF8: 0B656516
	v_mul_f32_e32 v179, v22, v179                              // 000000006EFC: 0B676716
	v_cvt_i32_f32_e32 v176, v176                               // 000000006F00: 7F6011B0
	v_cvt_i32_f32_e32 v177, v177                               // 000000006F04: 7F6211B1
	v_cvt_i32_f32_e32 v178, v178                               // 000000006F08: 7F6411B2
	v_cvt_i32_f32_e32 v179, v179                               // 000000006F0C: 7F6611B3
	v_perm_b32 v140, v177, v176, s53                           // 000000006F10: D1ED008C 00D761B1
	v_perm_b32 v140, v178, v140, s54                           // 000000006F18: D1ED008C 00DB19B2
	v_perm_b32 v140, v179, v140, s55                           // 000000006F20: D1ED008C 00DF19B3
	v_mul_f32_e32 v180, v23, v180                              // 000000006F28: 0B696917
	v_mul_f32_e32 v181, v23, v181                              // 000000006F2C: 0B6B6B17
	v_mul_f32_e32 v182, v23, v182                              // 000000006F30: 0B6D6D17
	v_mul_f32_e32 v183, v23, v183                              // 000000006F34: 0B6F6F17
	v_cvt_i32_f32_e32 v180, v180                               // 000000006F38: 7F6811B4
	v_cvt_i32_f32_e32 v181, v181                               // 000000006F3C: 7F6A11B5
	v_cvt_i32_f32_e32 v182, v182                               // 000000006F40: 7F6C11B6
	v_cvt_i32_f32_e32 v183, v183                               // 000000006F44: 7F6E11B7
	v_perm_b32 v141, v181, v180, s53                           // 000000006F48: D1ED008D 00D769B5
	v_perm_b32 v141, v182, v141, s54                           // 000000006F50: D1ED008D 00DB1BB6
	v_perm_b32 v141, v183, v141, s55                           // 000000006F58: D1ED008D 00DF1BB7
	v_mul_f32_e32 v184, v22, v184                              // 000000006F60: 0B717116
	v_mul_f32_e32 v185, v22, v185                              // 000000006F64: 0B737316
	v_mul_f32_e32 v186, v22, v186                              // 000000006F68: 0B757516
	v_mul_f32_e32 v187, v22, v187                              // 000000006F6C: 0B777716
	v_cvt_i32_f32_e32 v184, v184                               // 000000006F70: 7F7011B8
	v_cvt_i32_f32_e32 v185, v185                               // 000000006F74: 7F7211B9
	v_cvt_i32_f32_e32 v186, v186                               // 000000006F78: 7F7411BA
	v_cvt_i32_f32_e32 v187, v187                               // 000000006F7C: 7F7611BB
	v_perm_b32 v142, v185, v184, s53                           // 000000006F80: D1ED008E 00D771B9
	v_perm_b32 v142, v186, v142, s54                           // 000000006F88: D1ED008E 00DB1DBA
	v_perm_b32 v142, v187, v142, s55                           // 000000006F90: D1ED008E 00DF1DBB
	v_mul_f32_e32 v188, v23, v188                              // 000000006F98: 0B797917
	v_mul_f32_e32 v189, v23, v189                              // 000000006F9C: 0B7B7B17
	v_mul_f32_e32 v190, v23, v190                              // 000000006FA0: 0B7D7D17
	v_mul_f32_e32 v191, v23, v191                              // 000000006FA4: 0B7F7F17
	v_cvt_i32_f32_e32 v188, v188                               // 000000006FA8: 7F7811BC
	v_cvt_i32_f32_e32 v189, v189                               // 000000006FAC: 7F7A11BD
	v_cvt_i32_f32_e32 v190, v190                               // 000000006FB0: 7F7C11BE
	v_cvt_i32_f32_e32 v191, v191                               // 000000006FB4: 7F7E11BF
	v_perm_b32 v143, v189, v188, s53                           // 000000006FB8: D1ED008F 00D779BD
	v_perm_b32 v143, v190, v143, s54                           // 000000006FC0: D1ED008F 00DB1FBE
	v_perm_b32 v143, v191, v143, s55                           // 000000006FC8: D1ED008F 00DF1FBF
	v_rcp_f32_e32 v24, v22                                     // 000000006FD0: 7E304516
	v_rcp_f32_e32 v25, v23                                     // 000000006FD4: 7E324517
	v_lshrrev_b32_e32 v44, 5, v0                               // 000000006FD8: 20580085
	v_lshlrev_b32_e32 v45, 5, v44                              // 000000006FDC: 245A5885
	v_and_b32_e32 v44, 31, v0                                  // 000000006FE0: 2658009F
	v_lshrrev_b32_e32 v46, 4, v44                              // 000000006FE4: 205C5884
	v_add_u32_e32 v45, v46, v45                                // 000000006FE8: 685A5B2E
	v_and_b32_e32 v44, 15, v0                                  // 000000006FEC: 2658008F
	v_lshlrev_b32_e32 v44, 1, v44                              // 000000006FF0: 24585881
	v_add_u32_e32 v45, v44, v45                                // 000000006FF4: 685A5B2C
	v_lshlrev_b32_e32 v44, 2, v45                              // 000000006FF8: 24585A82
	s_mul_i32 s60, 0x100, s5                                   // 000000006FFC: 923C05FF 00000100
	v_add_u32_e64 v44, v44, s60                                // 000000007004: D134002C 0000792C
	ds_write_b32 v44, v128 offset:2048                         // 00000000700C: D81A0800 0000802C
	ds_write_b32 v44, v129 offset:10240                        // 000000007014: D81A2800 0000812C
	ds_write_b32 v44, v130 offset:3072                         // 00000000701C: D81A0C00 0000822C
	ds_write_b32 v44, v131 offset:11264                        // 000000007024: D81A2C00 0000832C
	ds_write_b32 v44, v132 offset:4096                         // 00000000702C: D81A1000 0000842C
	ds_write_b32 v44, v133 offset:12288                        // 000000007034: D81A3000 0000852C
	ds_write_b32 v44, v134 offset:5120                         // 00000000703C: D81A1400 0000862C
	ds_write_b32 v44, v135 offset:13312                        // 000000007044: D81A3400 0000872C
	ds_write_b32 v44, v136 offset:6144                         // 00000000704C: D81A1800 0000882C
	ds_write_b32 v44, v137 offset:14336                        // 000000007054: D81A3800 0000892C
	ds_write_b32 v44, v138 offset:7168                         // 00000000705C: D81A1C00 00008A2C
	ds_write_b32 v44, v139 offset:15360                        // 000000007064: D81A3C00 00008B2C
	ds_write_b32 v44, v140 offset:8192                         // 00000000706C: D81A2000 00008C2C
	ds_write_b32 v44, v141 offset:16384                        // 000000007074: D81A4000 00008D2C
	ds_write_b32 v44, v142 offset:9216                         // 00000000707C: D81A2400 00008E2C
	ds_write_b32 v44, v143 offset:17408                        // 000000007084: D81A4400 00008F2C
	s_waitcnt lgkmcnt(0)                                       // 00000000708C: BF8CC07F
	s_barrier                                                  // 000000007090: BF8A0000
	v_lshrrev_b32_e32 v44, 4, v0                               // 000000007094: 20580084
	v_lshlrev_b32_e32 v45, 6, v44                              // 000000007098: 245A5886
	v_and_b32_e32 v44, 15, v0                                  // 00000000709C: 2658008F
	v_lshlrev_b32_e32 v44, 1, v44                              // 0000000070A0: 24585881
	v_add_u32_e32 v45, v44, v45                                // 0000000070A4: 685A5B2C
	v_lshlrev_b32_e32 v44, 2, v45                              // 0000000070A8: 24585A82
	ds_read_b64 v[128:129], v44 offset:2048                    // 0000000070AC: D8EC0800 8000002C
	ds_read_b64 v[130:131], v44 offset:2176                    // 0000000070B4: D8EC0880 8200002C
	ds_read_b64 v[132:133], v44 offset:3072                    // 0000000070BC: D8EC0C00 8400002C
	ds_read_b64 v[134:135], v44 offset:3200                    // 0000000070C4: D8EC0C80 8600002C
	ds_read_b64 v[136:137], v44 offset:4096                    // 0000000070CC: D8EC1000 8800002C
	ds_read_b64 v[138:139], v44 offset:4224                    // 0000000070D4: D8EC1080 8A00002C
	ds_read_b64 v[140:141], v44 offset:5120                    // 0000000070DC: D8EC1400 8C00002C
	ds_read_b64 v[142:143], v44 offset:5248                    // 0000000070E4: D8EC1480 8E00002C
	ds_read_b64 v[144:145], v44 offset:6144                    // 0000000070EC: D8EC1800 9000002C
	ds_read_b64 v[146:147], v44 offset:6272                    // 0000000070F4: D8EC1880 9200002C
	ds_read_b64 v[148:149], v44 offset:7168                    // 0000000070FC: D8EC1C00 9400002C
	ds_read_b64 v[150:151], v44 offset:7296                    // 000000007104: D8EC1C80 9600002C
	ds_read_b64 v[152:153], v44 offset:8192                    // 00000000710C: D8EC2000 9800002C
	ds_read_b64 v[154:155], v44 offset:8320                    // 000000007114: D8EC2080 9A00002C
	ds_read_b64 v[156:157], v44 offset:9216                    // 00000000711C: D8EC2400 9C00002C
	ds_read_b64 v[158:159], v44 offset:9344                    // 000000007124: D8EC2480 9E00002C
	ds_read_b64 v[160:161], v44 offset:10240                   // 00000000712C: D8EC2800 A000002C
	ds_read_b64 v[162:163], v44 offset:10368                   // 000000007134: D8EC2880 A200002C
	ds_read_b64 v[164:165], v44 offset:11264                   // 00000000713C: D8EC2C00 A400002C
	ds_read_b64 v[166:167], v44 offset:11392                   // 000000007144: D8EC2C80 A600002C
	ds_read_b64 v[168:169], v44 offset:12288                   // 00000000714C: D8EC3000 A800002C
	ds_read_b64 v[170:171], v44 offset:12416                   // 000000007154: D8EC3080 AA00002C
	ds_read_b64 v[172:173], v44 offset:13312                   // 00000000715C: D8EC3400 AC00002C
	ds_read_b64 v[174:175], v44 offset:13440                   // 000000007164: D8EC3480 AE00002C
	ds_read_b64 v[176:177], v44 offset:14336                   // 00000000716C: D8EC3800 B000002C
	ds_read_b64 v[178:179], v44 offset:14464                   // 000000007174: D8EC3880 B200002C
	ds_read_b64 v[180:181], v44 offset:15360                   // 00000000717C: D8EC3C00 B400002C
	ds_read_b64 v[182:183], v44 offset:15488                   // 000000007184: D8EC3C80 B600002C
	ds_read_b64 v[184:185], v44 offset:16384                   // 00000000718C: D8EC4000 B800002C
	ds_read_b64 v[186:187], v44 offset:16512                   // 000000007194: D8EC4080 BA00002C
	ds_read_b64 v[188:189], v44 offset:17408                   // 00000000719C: D8EC4400 BC00002C
	ds_read_b64 v[190:191], v44 offset:17536                   // 0000000071A4: D8EC4480 BE00002C
	s_add_u32 s12, s56, s12                                    // 0000000071AC: 800C0C38
	s_addc_u32 s13, 0, s13                                     // 0000000071B0: 820D0D80
	s_add_u32 s16, s79, s16                                    // 0000000071B4: 8010104F
	s_addc_u32 s17, 0, s17                                     // 0000000071B8: 82111180
	s_waitcnt lgkmcnt(0)                                       // 0000000071BC: BF8CC07F
	s_barrier                                                  // 0000000071C0: BF8A0000
	v_mov_b32_e32 v192, 0                                      // 0000000071C4: 7F800280
	v_mov_b32_e32 v224, 0                                      // 0000000071C8: 7FC00280
	v_mov_b32_e32 v193, 0                                      // 0000000071CC: 7F820280
	v_mov_b32_e32 v225, 0                                      // 0000000071D0: 7FC20280
	v_mov_b32_e32 v194, 0                                      // 0000000071D4: 7F840280
	v_mov_b32_e32 v226, 0                                      // 0000000071D8: 7FC40280
	v_mov_b32_e32 v195, 0                                      // 0000000071DC: 7F860280
	v_mov_b32_e32 v227, 0                                      // 0000000071E0: 7FC60280
	v_mov_b32_e32 v196, 0                                      // 0000000071E4: 7F880280
	v_mov_b32_e32 v228, 0                                      // 0000000071E8: 7FC80280
	v_mov_b32_e32 v197, 0                                      // 0000000071EC: 7F8A0280
	v_mov_b32_e32 v229, 0                                      // 0000000071F0: 7FCA0280
	v_mov_b32_e32 v198, 0                                      // 0000000071F4: 7F8C0280
	v_mov_b32_e32 v230, 0                                      // 0000000071F8: 7FCC0280
	v_mov_b32_e32 v199, 0                                      // 0000000071FC: 7F8E0280
	v_mov_b32_e32 v231, 0                                      // 000000007200: 7FCE0280
	v_mov_b32_e32 v200, 0                                      // 000000007204: 7F900280
	v_mov_b32_e32 v232, 0                                      // 000000007208: 7FD00280
	v_mov_b32_e32 v201, 0                                      // 00000000720C: 7F920280
	v_mov_b32_e32 v233, 0                                      // 000000007210: 7FD20280
	v_mov_b32_e32 v202, 0                                      // 000000007214: 7F940280
	v_mov_b32_e32 v234, 0                                      // 000000007218: 7FD40280
	v_mov_b32_e32 v203, 0                                      // 00000000721C: 7F960280
	v_mov_b32_e32 v235, 0                                      // 000000007220: 7FD60280
	v_mov_b32_e32 v204, 0                                      // 000000007224: 7F980280
	v_mov_b32_e32 v236, 0                                      // 000000007228: 7FD80280
	v_mov_b32_e32 v205, 0                                      // 00000000722C: 7F9A0280
	v_mov_b32_e32 v237, 0                                      // 000000007230: 7FDA0280
	v_mov_b32_e32 v206, 0                                      // 000000007234: 7F9C0280
	v_mov_b32_e32 v238, 0                                      // 000000007238: 7FDC0280
	v_mov_b32_e32 v207, 0                                      // 00000000723C: 7F9E0280
	v_mov_b32_e32 v239, 0                                      // 000000007240: 7FDE0280
	v_lshlrev_b32_e32 v44, 2, v0                               // 000000007244: 24580082
	s_mul_i32 s60, s86, s71                                    // 000000007248: 923C4756
	v_add_u32_e64 v80, v44, s60                                // 00000000724C: D1340050 0000792C
	v_mov_b32_e32 v81, 0                                       // 000000007254: 7EA20280
	s_mul_i32 s60, s87, s71                                    // 000000007258: 923C4757
	v_add_u32_e64 v82, v44, s60                                // 00000000725C: D1340052 0000792C
	v_mov_b32_e32 v83, 0                                       // 000000007264: 7EA60280
	s_mul_i32 s60, s88, s71                                    // 000000007268: 923C4758
	v_add_u32_e64 v84, v44, s60                                // 00000000726C: D1340054 0000792C
	v_mov_b32_e32 v85, 0                                       // 000000007274: 7EAA0280
	s_mul_i32 s60, s89, s71                                    // 000000007278: 923C4759
	v_add_u32_e64 v86, v44, s60                                // 00000000727C: D1340056 0000792C
	v_mov_b32_e32 v87, 0                                       // 000000007284: 7EAE0280
	s_mul_i32 s60, s90, s71                                    // 000000007288: 923C475A
	v_add_u32_e64 v88, v44, s60                                // 00000000728C: D1340058 0000792C
	v_mov_b32_e32 v89, 0                                       // 000000007294: 7EB20280
	s_mul_i32 s60, s91, s71                                    // 000000007298: 923C475B
	v_add_u32_e64 v90, v44, s60                                // 00000000729C: D134005A 0000792C
	v_mov_b32_e32 v91, 0                                       // 0000000072A4: 7EB60280
	s_mul_i32 s60, s92, s71                                    // 0000000072A8: 923C475C
	v_add_u32_e64 v92, v44, s60                                // 0000000072AC: D134005C 0000792C
	v_mov_b32_e32 v93, 0                                       // 0000000072B4: 7EBA0280
	s_mul_i32 s60, s93, s71                                    // 0000000072B8: 923C475D
	v_add_u32_e64 v94, v44, s60                                // 0000000072BC: D134005E 0000792C
	v_mov_b32_e32 v95, 0                                       // 0000000072C4: 7EBE0280
	ds_write_b64 v3, v[192:193] offset:18432                   // 0000000072C8: D89A4800 0000C003
	ds_write_b64 v3, v[194:195] offset:27136                   // 0000000072D0: D89A6A00 0000C203
	ds_write_b64 v3, v[196:197] offset:20608                   // 0000000072D8: D89A5080 0000C403
	ds_write_b64 v3, v[198:199] offset:29312                   // 0000000072E0: D89A7280 0000C603
	ds_write_b64 v3, v[200:201] offset:22784                   // 0000000072E8: D89A5900 0000C803
	ds_write_b64 v3, v[202:203] offset:31488                   // 0000000072F0: D89A7B00 0000CA03
	ds_write_b64 v3, v[204:205] offset:24960                   // 0000000072F8: D89A6180 0000CC03
	ds_write_b64 v3, v[206:207] offset:33664                   // 000000007300: D89A8380 0000CE03
	s_mov_b32 s80, 0                                           // 000000007308: BED00080
	s_waitcnt vmcnt(0) expcnt(0) lgkmcnt(0)                    // 00000000730C: BF8C0000

0000000000007310 <label_1144>:
	s_waitcnt vmcnt(41) lgkmcnt(0)                             // 000000007310: BF8C8079
	s_barrier                                                  // 000000007314: BF8A0000
	v_mfma_i32_16x16x32_i8 v[192:195], a[0:1], v[128:129], 0   // 000000007318: D3D700C0 0A030100
	ds_read_b32 v64, v4 offset:18432                           // 000000007320: D86C4800 40000004
	ds_read_b32 v65, v4 offset:22784                           // 000000007328: D86C5900 41000004
	v_mfma_i32_16x16x32_i8 v[192:195], a[2:3], v[130:131], v[192:195]// 000000007330: D3D700C0 0F030502
	buffer_load_dwordx4 a[128:131], v48, s[12:15], 0 offen     // 000000007338: E05C1000 80838030
	v_mfma_i32_16x16x32_i8 v[192:195], a[4:5], v[132:133], v[192:195]// 000000007340: D3D700C0 0F030904
	ds_read_b32 v66, v4 offset:18464                           // 000000007348: D86C4820 42000004
	ds_read_b32 v67, v4 offset:22816                           // 000000007350: D86C5920 43000004
	v_mfma_i32_16x16x32_i8 v[192:195], a[6:7], v[134:135], v[192:195]// 000000007358: D3D700C0 0F030D06
	v_mfma_i32_16x16x32_i8 v[192:195], a[8:9], v[136:137], v[192:195]// 000000007360: D3D700C0 0F031108
	ds_read_b32 v68, v4 offset:18496                           // 000000007368: D86C4840 44000004
	ds_read_b32 v69, v4 offset:22848                           // 000000007370: D86C5940 45000004
	v_mfma_i32_16x16x32_i8 v[192:195], a[10:11], v[138:139], v[192:195]// 000000007378: D3D700C0 0F03150A
	buffer_load_dwordx4 a[132:135], v48, s[12:15], 0 offen offset:1024// 000000007380: E05C1400 80838430
	v_mfma_i32_16x16x32_i8 v[192:195], a[12:13], v[140:141], v[192:195]// 000000007388: D3D700C0 0F03190C
	ds_read_b32 v70, v4 offset:18528                           // 000000007390: D86C4860 46000004
	ds_read_b32 v71, v4 offset:22880                           // 000000007398: D86C5960 47000004
	v_mfma_i32_16x16x32_i8 v[192:195], a[14:15], v[142:143], v[192:195]// 0000000073A0: D3D700C0 0F031D0E
	v_mfma_i32_16x16x32_i8 v[196:199], a[0:1], v[160:161], 0   // 0000000073A8: D3D700C4 0A034100
	ds_read_b32 v72, v4 offset:27136                           // 0000000073B0: D86C6A00 48000004
	ds_read_b32 v73, v4 offset:31488                           // 0000000073B8: D86C7B00 49000004
	v_mfma_i32_16x16x32_i8 v[196:199], a[2:3], v[162:163], v[196:199]// 0000000073C0: D3D700C4 0F134502
	buffer_load_dwordx4 a[136:139], v48, s[12:15], 0 offen offset:2048// 0000000073C8: E05C1800 80838830
	v_mfma_i32_16x16x32_i8 v[196:199], a[4:5], v[164:165], v[196:199]// 0000000073D0: D3D700C4 0F134904
	ds_read_b32 v74, v4 offset:27168                           // 0000000073D8: D86C6A20 4A000004
	ds_read_b32 v75, v4 offset:31520                           // 0000000073E0: D86C7B20 4B000004
	v_mfma_i32_16x16x32_i8 v[196:199], a[6:7], v[166:167], v[196:199]// 0000000073E8: D3D700C4 0F134D06
	v_mfma_i32_16x16x32_i8 v[196:199], a[8:9], v[168:169], v[196:199]// 0000000073F0: D3D700C4 0F135108
	ds_read_b32 v76, v4 offset:27200                           // 0000000073F8: D86C6A40 4C000004
	ds_read_b32 v77, v4 offset:31552                           // 000000007400: D86C7B40 4D000004
	v_mfma_i32_16x16x32_i8 v[196:199], a[10:11], v[170:171], v[196:199]// 000000007408: D3D700C4 0F13550A
	buffer_load_dwordx4 a[140:143], v48, s[12:15], 0 offen offset:3072// 000000007410: E05C1C00 80838C30
	v_mfma_i32_16x16x32_i8 v[196:199], a[12:13], v[172:173], v[196:199]// 000000007418: D3D700C4 0F13590C
	ds_read_b32 v78, v4 offset:27232                           // 000000007420: D86C6A60 4E000004
	ds_read_b32 v79, v4 offset:31584                           // 000000007428: D86C7B60 4F000004
	v_mfma_i32_16x16x32_i8 v[196:199], a[14:15], v[174:175], v[196:199]// 000000007430: D3D700C4 0F135D0E
	v_mfma_i32_16x16x32_i8 v[200:203], a[16:17], v[128:129], 0 // 000000007438: D3D700C8 0A030110
	v_mfma_i32_16x16x32_i8 v[200:203], a[18:19], v[130:131], v[200:203]// 000000007440: D3D700C8 0F230512
	buffer_load_dwordx4 a[144:147], v49, s[12:15], 0 offen     // 000000007448: E05C1000 80839031
	v_mfma_i32_16x16x32_i8 v[200:203], a[20:21], v[132:133], v[200:203]// 000000007450: D3D700C8 0F230914
	v_mfma_i32_16x16x32_i8 v[200:203], a[22:23], v[134:135], v[200:203]// 000000007458: D3D700C8 0F230D16
	v_mfma_i32_16x16x32_i8 v[200:203], a[24:25], v[136:137], v[200:203]// 000000007460: D3D700C8 0F231118
	v_mfma_i32_16x16x32_i8 v[200:203], a[26:27], v[138:139], v[200:203]// 000000007468: D3D700C8 0F23151A
	buffer_load_dwordx4 a[148:151], v49, s[12:15], 0 offen offset:1024// 000000007470: E05C1400 80839431
	v_mfma_i32_16x16x32_i8 v[200:203], a[28:29], v[140:141], v[200:203]// 000000007478: D3D700C8 0F23191C
	v_mfma_i32_16x16x32_i8 v[200:203], a[30:31], v[142:143], v[200:203]// 000000007480: D3D700C8 0F231D1E
	v_mfma_i32_16x16x32_i8 v[204:207], a[16:17], v[160:161], 0 // 000000007488: D3D700CC 0A034110
	v_mfma_i32_16x16x32_i8 v[204:207], a[18:19], v[162:163], v[204:207]// 000000007490: D3D700CC 0F334512
	buffer_load_dwordx4 a[152:155], v49, s[12:15], 0 offen offset:2048// 000000007498: E05C1800 80839831
	v_mfma_i32_16x16x32_i8 v[204:207], a[20:21], v[164:165], v[204:207]// 0000000074A0: D3D700CC 0F334914
	v_mfma_i32_16x16x32_i8 v[204:207], a[22:23], v[166:167], v[204:207]// 0000000074A8: D3D700CC 0F334D16
	v_mfma_i32_16x16x32_i8 v[204:207], a[24:25], v[168:169], v[204:207]// 0000000074B0: D3D700CC 0F335118
	v_mfma_i32_16x16x32_i8 v[204:207], a[26:27], v[170:171], v[204:207]// 0000000074B8: D3D700CC 0F33551A
	buffer_load_dwordx4 a[156:159], v49, s[12:15], 0 offen offset:3072// 0000000074C0: E05C1C00 80839C31
	v_mfma_i32_16x16x32_i8 v[204:207], a[28:29], v[172:173], v[204:207]// 0000000074C8: D3D700CC 0F33591C
	v_mfma_i32_16x16x32_i8 v[204:207], a[30:31], v[174:175], v[204:207]// 0000000074D0: D3D700CC 0F335D1E
	s_waitcnt vmcnt(41)                                        // 0000000074D8: BF8C8F79
	v_mfma_i32_16x16x32_i8 v[208:211], a[32:33], v[128:129], 0 // 0000000074DC: D3D700D0 0A030120
	v_mfma_i32_16x16x32_i8 v[208:211], a[34:35], v[130:131], v[208:211]// 0000000074E4: D3D700D0 0F430522
	buffer_load_dwordx4 a[160:163], v50, s[12:15], 0 offen     // 0000000074EC: E05C1000 8083A032
	v_mfma_i32_16x16x32_i8 v[208:211], a[36:37], v[132:133], v[208:211]// 0000000074F4: D3D700D0 0F430924
	v_mfma_i32_16x16x32_i8 v[208:211], a[38:39], v[134:135], v[208:211]// 0000000074FC: D3D700D0 0F430D26
	v_mfma_i32_16x16x32_i8 v[208:211], a[40:41], v[136:137], v[208:211]// 000000007504: D3D700D0 0F431128
	v_mfma_i32_16x16x32_i8 v[208:211], a[42:43], v[138:139], v[208:211]// 00000000750C: D3D700D0 0F43152A
	buffer_load_dwordx4 a[164:167], v50, s[12:15], 0 offen offset:1024// 000000007514: E05C1400 8083A432
	v_mfma_i32_16x16x32_i8 v[208:211], a[44:45], v[140:141], v[208:211]// 00000000751C: D3D700D0 0F43192C
	v_mfma_i32_16x16x32_i8 v[208:211], a[46:47], v[142:143], v[208:211]// 000000007524: D3D700D0 0F431D2E
	v_mfma_i32_16x16x32_i8 v[212:215], a[32:33], v[160:161], 0 // 00000000752C: D3D700D4 0A034120
	v_mfma_i32_16x16x32_i8 v[212:215], a[34:35], v[162:163], v[212:215]// 000000007534: D3D700D4 0F534522
	buffer_load_dwordx4 a[168:171], v50, s[12:15], 0 offen offset:2048// 00000000753C: E05C1800 8083A832
	v_mfma_i32_16x16x32_i8 v[212:215], a[36:37], v[164:165], v[212:215]// 000000007544: D3D700D4 0F534924
	v_mfma_i32_16x16x32_i8 v[212:215], a[38:39], v[166:167], v[212:215]// 00000000754C: D3D700D4 0F534D26
	v_mfma_i32_16x16x32_i8 v[212:215], a[40:41], v[168:169], v[212:215]// 000000007554: D3D700D4 0F535128
	v_mfma_i32_16x16x32_i8 v[212:215], a[42:43], v[170:171], v[212:215]// 00000000755C: D3D700D4 0F53552A
	buffer_load_dwordx4 a[172:175], v50, s[12:15], 0 offen offset:3072// 000000007564: E05C1C00 8083AC32
	v_mfma_i32_16x16x32_i8 v[212:215], a[44:45], v[172:173], v[212:215]// 00000000756C: D3D700D4 0F53592C
	v_mfma_i32_16x16x32_i8 v[212:215], a[46:47], v[174:175], v[212:215]// 000000007574: D3D700D4 0F535D2E
	v_mfma_i32_16x16x32_i8 v[216:219], a[48:49], v[128:129], 0 // 00000000757C: D3D700D8 0A030130
	v_mfma_i32_16x16x32_i8 v[216:219], a[50:51], v[130:131], v[216:219]// 000000007584: D3D700D8 0F630532
	buffer_load_dwordx4 a[176:179], v51, s[12:15], 0 offen     // 00000000758C: E05C1000 8083B033
	v_mfma_i32_16x16x32_i8 v[216:219], a[52:53], v[132:133], v[216:219]// 000000007594: D3D700D8 0F630934
	v_mfma_i32_16x16x32_i8 v[216:219], a[54:55], v[134:135], v[216:219]// 00000000759C: D3D700D8 0F630D36
	v_mfma_i32_16x16x32_i8 v[216:219], a[56:57], v[136:137], v[216:219]// 0000000075A4: D3D700D8 0F631138
	v_mfma_i32_16x16x32_i8 v[216:219], a[58:59], v[138:139], v[216:219]// 0000000075AC: D3D700D8 0F63153A
	buffer_load_dwordx4 a[180:183], v51, s[12:15], 0 offen offset:1024// 0000000075B4: E05C1400 8083B433
	v_mfma_i32_16x16x32_i8 v[216:219], a[60:61], v[140:141], v[216:219]// 0000000075BC: D3D700D8 0F63193C
	v_mfma_i32_16x16x32_i8 v[216:219], a[62:63], v[142:143], v[216:219]// 0000000075C4: D3D700D8 0F631D3E
	v_mfma_i32_16x16x32_i8 v[220:223], a[48:49], v[160:161], 0 // 0000000075CC: D3D700DC 0A034130
	v_mfma_i32_16x16x32_i8 v[220:223], a[50:51], v[162:163], v[220:223]// 0000000075D4: D3D700DC 0F734532
	buffer_load_dwordx4 a[184:187], v51, s[12:15], 0 offen offset:2048// 0000000075DC: E05C1800 8083B833
	v_mfma_i32_16x16x32_i8 v[220:223], a[52:53], v[164:165], v[220:223]// 0000000075E4: D3D700DC 0F734934
	v_mfma_i32_16x16x32_i8 v[220:223], a[54:55], v[166:167], v[220:223]// 0000000075EC: D3D700DC 0F734D36
	v_mfma_i32_16x16x32_i8 v[220:223], a[56:57], v[168:169], v[220:223]// 0000000075F4: D3D700DC 0F735138
	v_mfma_i32_16x16x32_i8 v[220:223], a[58:59], v[170:171], v[220:223]// 0000000075FC: D3D700DC 0F73553A
	buffer_load_dwordx4 a[188:191], v51, s[12:15], 0 offen offset:3072// 000000007604: E05C1C00 8083BC33
	s_add_u32 s12, s78, s12                                    // 00000000760C: 800C0C4E
	s_addc_u32 s13, 0, s13                                     // 000000007610: 820D0D80
	v_mfma_i32_16x16x32_i8 v[220:223], a[60:61], v[172:173], v[220:223]// 000000007614: D3D700DC 0F73593C
	v_mfma_i32_16x16x32_i8 v[220:223], a[62:63], v[174:175], v[220:223]// 00000000761C: D3D700DC 0F735D3E
	s_waitcnt vmcnt(41)                                        // 000000007624: BF8C8F79
	v_mfma_i32_16x16x32_i8 v[192:195], a[64:65], v[144:145], v[192:195]// 000000007628: D3D700C0 0F032140
	ds_write_b64 v3, v[224:225] offset:35840                   // 000000007630: D89A8C00 0000E003
	v_mfma_i32_16x16x32_i8 v[192:195], a[66:67], v[146:147], v[192:195]// 000000007638: D3D700C0 0F032542
	buffer_load_dwordx4 a[192:195], v48, s[12:15], 0 offen     // 000000007640: E05C1000 8083C030
	v_mfma_i32_16x16x32_i8 v[192:195], a[68:69], v[148:149], v[192:195]// 000000007648: D3D700C0 0F032944
	ds_write_b64 v3, v[226:227] offset:44544                   // 000000007650: D89AAE00 0000E203
	v_mfma_i32_16x16x32_i8 v[192:195], a[70:71], v[150:151], v[192:195]// 000000007658: D3D700C0 0F032D46
	v_mfma_i32_16x16x32_i8 v[192:195], a[72:73], v[152:153], v[192:195]// 000000007660: D3D700C0 0F033148
	ds_write_b64 v3, v[228:229] offset:38016                   // 000000007668: D89A9480 0000E403
	v_mfma_i32_16x16x32_i8 v[192:195], a[74:75], v[154:155], v[192:195]// 000000007670: D3D700C0 0F03354A
	buffer_load_dwordx4 a[196:199], v48, s[12:15], 0 offen offset:1024// 000000007678: E05C1400 8083C430
	v_mfma_i32_16x16x32_i8 v[192:195], a[76:77], v[156:157], v[192:195]// 000000007680: D3D700C0 0F03394C
	ds_write_b64 v3, v[230:231] offset:46720                   // 000000007688: D89AB680 0000E603
	v_mfma_i32_16x16x32_i8 v[192:195], a[78:79], v[158:159], v[192:195]// 000000007690: D3D700C0 0F033D4E
	v_mfma_i32_16x16x32_i8 v[196:199], a[64:65], v[176:177], v[196:199]// 000000007698: D3D700C4 0F136140
	ds_write_b64 v3, v[232:233] offset:40192                   // 0000000076A0: D89A9D00 0000E803
	v_mfma_i32_16x16x32_i8 v[196:199], a[66:67], v[178:179], v[196:199]// 0000000076A8: D3D700C4 0F136542
	buffer_load_dwordx4 a[200:203], v48, s[12:15], 0 offen offset:2048// 0000000076B0: E05C1800 8083C830
	v_mfma_i32_16x16x32_i8 v[196:199], a[68:69], v[180:181], v[196:199]// 0000000076B8: D3D700C4 0F136944
	ds_write_b64 v3, v[234:235] offset:48896                   // 0000000076C0: D89ABF00 0000EA03
	v_mfma_i32_16x16x32_i8 v[196:199], a[70:71], v[182:183], v[196:199]// 0000000076C8: D3D700C4 0F136D46
	v_mfma_i32_16x16x32_i8 v[196:199], a[72:73], v[184:185], v[196:199]// 0000000076D0: D3D700C4 0F137148
	ds_write_b64 v3, v[236:237] offset:42368                   // 0000000076D8: D89AA580 0000EC03
	v_mfma_i32_16x16x32_i8 v[196:199], a[74:75], v[186:187], v[196:199]// 0000000076E0: D3D700C4 0F13754A
	buffer_load_dwordx4 a[204:207], v48, s[12:15], 0 offen offset:3072// 0000000076E8: E05C1C00 8083CC30
	v_mfma_i32_16x16x32_i8 v[196:199], a[76:77], v[188:189], v[196:199]// 0000000076F0: D3D700C4 0F13794C
	ds_write_b64 v3, v[238:239] offset:51072                   // 0000000076F8: D89AC780 0000EE03
	v_mfma_i32_16x16x32_i8 v[196:199], a[78:79], v[190:191], v[196:199]// 000000007700: D3D700C4 0F137D4E
	v_mfma_i32_16x16x32_i8 v[200:203], a[80:81], v[144:145], v[200:203]// 000000007708: D3D700C8 0F232150
	v_mfma_i32_16x16x32_i8 v[200:203], a[82:83], v[146:147], v[200:203]// 000000007710: D3D700C8 0F232552
	buffer_load_dwordx4 a[208:211], v49, s[12:15], 0 offen     // 000000007718: E05C1000 8083D031
	v_mfma_i32_16x16x32_i8 v[200:203], a[84:85], v[148:149], v[200:203]// 000000007720: D3D700C8 0F232954
	v_mfma_i32_16x16x32_i8 v[200:203], a[86:87], v[150:151], v[200:203]// 000000007728: D3D700C8 0F232D56
	v_mfma_i32_16x16x32_i8 v[200:203], a[88:89], v[152:153], v[200:203]// 000000007730: D3D700C8 0F233158
	v_mfma_i32_16x16x32_i8 v[200:203], a[90:91], v[154:155], v[200:203]// 000000007738: D3D700C8 0F23355A
	buffer_load_dwordx4 a[212:215], v49, s[12:15], 0 offen offset:1024// 000000007740: E05C1400 8083D431
	v_mfma_i32_16x16x32_i8 v[200:203], a[92:93], v[156:157], v[200:203]// 000000007748: D3D700C8 0F23395C
	v_mfma_i32_16x16x32_i8 v[200:203], a[94:95], v[158:159], v[200:203]// 000000007750: D3D700C8 0F233D5E
	v_mfma_i32_16x16x32_i8 v[204:207], a[80:81], v[176:177], v[204:207]// 000000007758: D3D700CC 0F336150
	v_mfma_i32_16x16x32_i8 v[204:207], a[82:83], v[178:179], v[204:207]// 000000007760: D3D700CC 0F336552
	buffer_load_dwordx4 a[216:219], v49, s[12:15], 0 offen offset:2048// 000000007768: E05C1800 8083D831
	v_mfma_i32_16x16x32_i8 v[204:207], a[84:85], v[180:181], v[204:207]// 000000007770: D3D700CC 0F336954
	v_mfma_i32_16x16x32_i8 v[204:207], a[86:87], v[182:183], v[204:207]// 000000007778: D3D700CC 0F336D56
	v_mfma_i32_16x16x32_i8 v[204:207], a[88:89], v[184:185], v[204:207]// 000000007780: D3D700CC 0F337158
	v_mfma_i32_16x16x32_i8 v[204:207], a[90:91], v[186:187], v[204:207]// 000000007788: D3D700CC 0F33755A
	buffer_load_dwordx4 a[220:223], v49, s[12:15], 0 offen offset:3072// 000000007790: E05C1C00 8083DC31
	v_mfma_i32_16x16x32_i8 v[204:207], a[92:93], v[188:189], v[204:207]// 000000007798: D3D700CC 0F33795C
	v_mfma_i32_16x16x32_i8 v[204:207], a[94:95], v[190:191], v[204:207]// 0000000077A0: D3D700CC 0F337D5E
	s_waitcnt vmcnt(40)                                        // 0000000077A8: BF8C8F78
	v_mfma_i32_16x16x32_i8 v[208:211], a[96:97], v[144:145], v[208:211]// 0000000077AC: D3D700D0 0F432160
	v_mfma_i32_16x16x32_i8 v[208:211], a[98:99], v[146:147], v[208:211]// 0000000077B4: D3D700D0 0F432562
	buffer_load_dwordx4 a[224:227], v50, s[12:15], 0 offen     // 0000000077BC: E05C1000 8083E032
	v_mfma_i32_16x16x32_i8 v[208:211], a[100:101], v[148:149], v[208:211]// 0000000077C4: D3D700D0 0F432964
	v_mfma_i32_16x16x32_i8 v[208:211], a[102:103], v[150:151], v[208:211]// 0000000077CC: D3D700D0 0F432D66
	buffer_load_dword v13, v5, s[16:19], 0 offen               // 0000000077D4: E0501000 80040D05
	v_mfma_i32_16x16x32_i8 v[208:211], a[104:105], v[152:153], v[208:211]// 0000000077DC: D3D700D0 0F433168
	v_mfma_i32_16x16x32_i8 v[208:211], a[106:107], v[154:155], v[208:211]// 0000000077E4: D3D700D0 0F43356A
	buffer_load_dwordx4 a[228:231], v50, s[12:15], 0 offen offset:1024// 0000000077EC: E05C1400 8083E432
	v_mfma_i32_16x16x32_i8 v[208:211], a[108:109], v[156:157], v[208:211]// 0000000077F4: D3D700D0 0F43396C
	v_mfma_i32_16x16x32_i8 v[208:211], a[110:111], v[158:159], v[208:211]// 0000000077FC: D3D700D0 0F433D6E
	v_mfma_i32_16x16x32_i8 v[212:215], a[96:97], v[176:177], v[212:215]// 000000007804: D3D700D4 0F536160
	v_mfma_i32_16x16x32_i8 v[212:215], a[98:99], v[178:179], v[212:215]// 00000000780C: D3D700D4 0F536562
	buffer_load_dwordx4 a[232:235], v50, s[12:15], 0 offen offset:2048// 000000007814: E05C1800 8083E832
	v_mfma_i32_16x16x32_i8 v[212:215], a[100:101], v[180:181], v[212:215]// 00000000781C: D3D700D4 0F536964
	s_add_u32 s60, 0x200, s80                                  // 000000007824: 803C50FF 00000200
	s_cmp_lt_u32 s60, s81                                      // 00000000782C: BF0A513C
	v_mfma_i32_16x16x32_i8 v[212:215], a[102:103], v[182:183], v[212:215]// 000000007830: D3D700D4 0F536D66
	s_cselect_b32 s56, s56, 0                                  // 000000007838: 85388038
	s_cselect_b32 s78, s78, 0                                  // 00000000783C: 854E804E
	s_cselect_b32 s79, s79, 0                                  // 000000007840: 854F804F
	v_mfma_i32_16x16x32_i8 v[212:215], a[104:105], v[184:185], v[212:215]// 000000007844: D3D700D4 0F537168
	v_mfma_i32_16x16x32_i8 v[212:215], a[106:107], v[186:187], v[212:215]// 00000000784C: D3D700D4 0F53756A
	buffer_load_dwordx4 a[236:239], v50, s[12:15], 0 offen offset:3072// 000000007854: E05C1C00 8083EC32
	v_mfma_i32_16x16x32_i8 v[212:215], a[108:109], v[188:189], v[212:215]// 00000000785C: D3D700D4 0F53796C
	s_add_u32 s16, s79, s16                                    // 000000007864: 8010104F
	s_addc_u32 s17, 0, s17                                     // 000000007868: 82111180
	v_mfma_i32_16x16x32_i8 v[212:215], a[110:111], v[190:191], v[212:215]// 00000000786C: D3D700D4 0F537D6E
	v_mfma_i32_16x16x32_i8 v[216:219], a[112:113], v[144:145], v[216:219]// 000000007874: D3D700D8 0F632170
	v_mfma_i32_16x16x32_i8 v[216:219], a[114:115], v[146:147], v[216:219]// 00000000787C: D3D700D8 0F632572
	buffer_load_dwordx4 a[240:243], v51, s[12:15], 0 offen     // 000000007884: E05C1000 8083F033
	v_mfma_i32_16x16x32_i8 v[216:219], a[116:117], v[148:149], v[216:219]// 00000000788C: D3D700D8 0F632974
	v_mfma_i32_16x16x32_i8 v[216:219], a[118:119], v[150:151], v[216:219]// 000000007894: D3D700D8 0F632D76
	v_mfma_i32_16x16x32_i8 v[216:219], a[120:121], v[152:153], v[216:219]// 00000000789C: D3D700D8 0F633178
	v_mfma_i32_16x16x32_i8 v[216:219], a[122:123], v[154:155], v[216:219]// 0000000078A4: D3D700D8 0F63357A
	buffer_load_dwordx4 a[244:247], v51, s[12:15], 0 offen offset:1024// 0000000078AC: E05C1400 8083F433
	v_mfma_i32_16x16x32_i8 v[216:219], a[124:125], v[156:157], v[216:219]// 0000000078B4: D3D700D8 0F63397C
	v_mfma_i32_16x16x32_i8 v[216:219], a[126:127], v[158:159], v[216:219]// 0000000078BC: D3D700D8 0F633D7E
	v_mfma_i32_16x16x32_i8 v[220:223], a[112:113], v[176:177], v[220:223]// 0000000078C4: D3D700DC 0F736170
	v_mfma_i32_16x16x32_i8 v[220:223], a[114:115], v[178:179], v[220:223]// 0000000078CC: D3D700DC 0F736572
	buffer_load_dwordx4 a[248:251], v51, s[12:15], 0 offen offset:2048// 0000000078D4: E05C1800 8083F833
	v_mfma_i32_16x16x32_i8 v[220:223], a[116:117], v[180:181], v[220:223]// 0000000078DC: D3D700DC 0F736974
	v_mfma_i32_16x16x32_i8 v[220:223], a[118:119], v[182:183], v[220:223]// 0000000078E4: D3D700DC 0F736D76
	v_mfma_i32_16x16x32_i8 v[220:223], a[120:121], v[184:185], v[220:223]// 0000000078EC: D3D700DC 0F737178
	v_mfma_i32_16x16x32_i8 v[220:223], a[122:123], v[186:187], v[220:223]// 0000000078F4: D3D700DC 0F73757A
	buffer_load_dwordx4 a[252:255], v51, s[12:15], 0 offen offset:3072// 0000000078FC: E05C1C00 8083FC33
	v_mfma_i32_16x16x32_i8 v[220:223], a[124:125], v[188:189], v[220:223]// 000000007904: D3D700DC 0F73797C
	s_add_u32 s12, s56, s12                                    // 00000000790C: 800C0C38
	s_addc_u32 s13, 0, s13                                     // 000000007910: 820D0D80
	v_mfma_i32_16x16x32_i8 v[220:223], a[126:127], v[190:191], v[220:223]// 000000007914: D3D700DC 0F737D7E
	v_mov_b32_e32 v96, v24                                     // 00000000791C: 7EC00318
	v_mov_b32_e32 v100, v20                                    // 000000007920: 7EC80314
	v_mov_b32_e32 v97, v24                                     // 000000007924: 7EC20318
	v_mov_b32_e32 v101, v20                                    // 000000007928: 7ECA0314
	v_mov_b32_e32 v98, v25                                     // 00000000792C: 7EC40319
	v_mov_b32_e32 v102, v21                                    // 000000007930: 7ECC0315
	v_mov_b32_e32 v99, v25                                     // 000000007934: 7EC60319
	v_mov_b32_e32 v103, v21                                    // 000000007938: 7ECE0315
	v_cvt_f32_i32_e32 v192, v192                               // 00000000793C: 7F800BC0
	v_cvt_f32_i32_e32 v193, v193                               // 000000007940: 7F820BC1
	v_cvt_f32_i32_e32 v194, v194                               // 000000007944: 7F840BC2
	v_cvt_f32_i32_e32 v195, v195                               // 000000007948: 7F860BC3
	v_pk_mul_f32 v[192:193], v[96:97], v[192:193]              // 00000000794C: D3B140C0 18038160
	v_pk_mul_f32 v[194:195], v[96:97], v[194:195]              // 000000007954: D3B140C2 18038560
	v_mul_f32_dpp v192, v12, v192 row_newbcast:0 row_mask:0xf bank_mask:0xf// 00000000795C: 0B8180FA FF01500C
	v_mul_f32_dpp v193, v12, v193 row_newbcast:1 row_mask:0xf bank_mask:0xf// 000000007964: 0B8382FA FF01510C
	v_mul_f32_dpp v194, v12, v194 row_newbcast:2 row_mask:0xf bank_mask:0xf// 00000000796C: 0B8584FA FF01520C
	v_mul_f32_dpp v195, v12, v195 row_newbcast:3 row_mask:0xf bank_mask:0xf// 000000007974: 0B8786FA FF01530C
	v_pk_mul_f32 v[192:193], v[100:101], v[192:193]            // 00000000797C: D3B140C0 18038164
	v_pk_mul_f32 v[194:195], v[100:101], v[194:195]            // 000000007984: D3B140C2 18038564
	v_cvt_f32_i32_e32 v196, v196                               // 00000000798C: 7F880BC4
	v_cvt_f32_i32_e32 v197, v197                               // 000000007990: 7F8A0BC5
	v_cvt_f32_i32_e32 v198, v198                               // 000000007994: 7F8C0BC6
	v_cvt_f32_i32_e32 v199, v199                               // 000000007998: 7F8E0BC7
	v_pk_mul_f32 v[196:197], v[98:99], v[196:197]              // 00000000799C: D3B140C4 18038962
	v_pk_mul_f32 v[198:199], v[98:99], v[198:199]              // 0000000079A4: D3B140C6 18038D62
	v_mul_f32_dpp v196, v12, v196 row_newbcast:0 row_mask:0xf bank_mask:0xf// 0000000079AC: 0B8988FA FF01500C
	v_mul_f32_dpp v197, v12, v197 row_newbcast:1 row_mask:0xf bank_mask:0xf// 0000000079B4: 0B8B8AFA FF01510C
	v_mul_f32_dpp v198, v12, v198 row_newbcast:2 row_mask:0xf bank_mask:0xf// 0000000079BC: 0B8D8CFA FF01520C
	v_mul_f32_dpp v199, v12, v199 row_newbcast:3 row_mask:0xf bank_mask:0xf// 0000000079C4: 0B8F8EFA FF01530C
	v_pk_mul_f32 v[196:197], v[102:103], v[196:197]            // 0000000079CC: D3B140C4 18038966
	v_pk_mul_f32 v[198:199], v[102:103], v[198:199]            // 0000000079D4: D3B140C6 18038D66
	v_cvt_f32_i32_e32 v200, v200                               // 0000000079DC: 7F900BC8
	v_cvt_f32_i32_e32 v201, v201                               // 0000000079E0: 7F920BC9
	v_cvt_f32_i32_e32 v202, v202                               // 0000000079E4: 7F940BCA
	v_cvt_f32_i32_e32 v203, v203                               // 0000000079E8: 7F960BCB
	v_pk_mul_f32 v[200:201], v[96:97], v[200:201]              // 0000000079EC: D3B140C8 18039160
	v_pk_mul_f32 v[202:203], v[96:97], v[202:203]              // 0000000079F4: D3B140CA 18039560
	v_mul_f32_dpp v200, v12, v200 row_newbcast:4 row_mask:0xf bank_mask:0xf// 0000000079FC: 0B9190FA FF01540C
	v_mul_f32_dpp v201, v12, v201 row_newbcast:5 row_mask:0xf bank_mask:0xf// 000000007A04: 0B9392FA FF01550C
	v_mul_f32_dpp v202, v12, v202 row_newbcast:6 row_mask:0xf bank_mask:0xf// 000000007A0C: 0B9594FA FF01560C
	v_mul_f32_dpp v203, v12, v203 row_newbcast:7 row_mask:0xf bank_mask:0xf// 000000007A14: 0B9796FA FF01570C
	v_pk_mul_f32 v[200:201], v[100:101], v[200:201]            // 000000007A1C: D3B140C8 18039164
	v_pk_mul_f32 v[202:203], v[100:101], v[202:203]            // 000000007A24: D3B140CA 18039564
	v_cvt_f32_i32_e32 v204, v204                               // 000000007A2C: 7F980BCC
	v_cvt_f32_i32_e32 v205, v205                               // 000000007A30: 7F9A0BCD
	v_cvt_f32_i32_e32 v206, v206                               // 000000007A34: 7F9C0BCE
	v_cvt_f32_i32_e32 v207, v207                               // 000000007A38: 7F9E0BCF
	v_pk_mul_f32 v[204:205], v[98:99], v[204:205]              // 000000007A3C: D3B140CC 18039962
	v_pk_mul_f32 v[206:207], v[98:99], v[206:207]              // 000000007A44: D3B140CE 18039D62
	v_mul_f32_dpp v204, v12, v204 row_newbcast:4 row_mask:0xf bank_mask:0xf// 000000007A4C: 0B9998FA FF01540C
	v_mul_f32_dpp v205, v12, v205 row_newbcast:5 row_mask:0xf bank_mask:0xf// 000000007A54: 0B9B9AFA FF01550C
	v_mul_f32_dpp v206, v12, v206 row_newbcast:6 row_mask:0xf bank_mask:0xf// 000000007A5C: 0B9D9CFA FF01560C
	v_mul_f32_dpp v207, v12, v207 row_newbcast:7 row_mask:0xf bank_mask:0xf// 000000007A64: 0B9F9EFA FF01570C
	v_pk_mul_f32 v[204:205], v[102:103], v[204:205]            // 000000007A6C: D3B140CC 18039966
	v_pk_mul_f32 v[206:207], v[102:103], v[206:207]            // 000000007A74: D3B140CE 18039D66
	v_cvt_f32_i32_e32 v208, v208                               // 000000007A7C: 7FA00BD0
	v_cvt_f32_i32_e32 v209, v209                               // 000000007A80: 7FA20BD1
	v_cvt_f32_i32_e32 v210, v210                               // 000000007A84: 7FA40BD2
	v_cvt_f32_i32_e32 v211, v211                               // 000000007A88: 7FA60BD3
	v_pk_mul_f32 v[208:209], v[96:97], v[208:209]              // 000000007A8C: D3B140D0 1803A160
	v_pk_mul_f32 v[210:211], v[96:97], v[210:211]              // 000000007A94: D3B140D2 1803A560
	v_mul_f32_dpp v208, v12, v208 row_newbcast:8 row_mask:0xf bank_mask:0xf// 000000007A9C: 0BA1A0FA FF01580C
	v_mul_f32_dpp v209, v12, v209 row_newbcast:9 row_mask:0xf bank_mask:0xf// 000000007AA4: 0BA3A2FA FF01590C
	v_mul_f32_dpp v210, v12, v210 row_newbcast:10 row_mask:0xf bank_mask:0xf// 000000007AAC: 0BA5A4FA FF015A0C
	v_mul_f32_dpp v211, v12, v211 row_newbcast:11 row_mask:0xf bank_mask:0xf// 000000007AB4: 0BA7A6FA FF015B0C
	v_pk_mul_f32 v[208:209], v[100:101], v[208:209]            // 000000007ABC: D3B140D0 1803A164
	v_pk_mul_f32 v[210:211], v[100:101], v[210:211]            // 000000007AC4: D3B140D2 1803A564
	v_cvt_f32_i32_e32 v212, v212                               // 000000007ACC: 7FA80BD4
	v_cvt_f32_i32_e32 v213, v213                               // 000000007AD0: 7FAA0BD5
	v_cvt_f32_i32_e32 v214, v214                               // 000000007AD4: 7FAC0BD6
	v_cvt_f32_i32_e32 v215, v215                               // 000000007AD8: 7FAE0BD7
	v_pk_mul_f32 v[212:213], v[98:99], v[212:213]              // 000000007ADC: D3B140D4 1803A962
	v_pk_mul_f32 v[214:215], v[98:99], v[214:215]              // 000000007AE4: D3B140D6 1803AD62
	v_mul_f32_dpp v212, v12, v212 row_newbcast:8 row_mask:0xf bank_mask:0xf// 000000007AEC: 0BA9A8FA FF01580C
	v_mul_f32_dpp v213, v12, v213 row_newbcast:9 row_mask:0xf bank_mask:0xf// 000000007AF4: 0BABAAFA FF01590C
	v_mul_f32_dpp v214, v12, v214 row_newbcast:10 row_mask:0xf bank_mask:0xf// 000000007AFC: 0BADACFA FF015A0C
	v_mul_f32_dpp v215, v12, v215 row_newbcast:11 row_mask:0xf bank_mask:0xf// 000000007B04: 0BAFAEFA FF015B0C
	v_pk_mul_f32 v[212:213], v[102:103], v[212:213]            // 000000007B0C: D3B140D4 1803A966
	v_pk_mul_f32 v[214:215], v[102:103], v[214:215]            // 000000007B14: D3B140D6 1803AD66
	v_cvt_f32_i32_e32 v216, v216                               // 000000007B1C: 7FB00BD8
	v_cvt_f32_i32_e32 v217, v217                               // 000000007B20: 7FB20BD9
	v_cvt_f32_i32_e32 v218, v218                               // 000000007B24: 7FB40BDA
	v_cvt_f32_i32_e32 v219, v219                               // 000000007B28: 7FB60BDB
	v_pk_mul_f32 v[216:217], v[96:97], v[216:217]              // 000000007B2C: D3B140D8 1803B160
	v_pk_mul_f32 v[218:219], v[96:97], v[218:219]              // 000000007B34: D3B140DA 1803B560
	v_mul_f32_dpp v216, v12, v216 row_newbcast:12 row_mask:0xf bank_mask:0xf// 000000007B3C: 0BB1B0FA FF015C0C
	v_mul_f32_dpp v217, v12, v217 row_newbcast:13 row_mask:0xf bank_mask:0xf// 000000007B44: 0BB3B2FA FF015D0C
	v_mul_f32_dpp v218, v12, v218 row_newbcast:14 row_mask:0xf bank_mask:0xf// 000000007B4C: 0BB5B4FA FF015E0C
	v_mul_f32_dpp v219, v12, v219 row_newbcast:15 row_mask:0xf bank_mask:0xf// 000000007B54: 0BB7B6FA FF015F0C
	v_pk_mul_f32 v[216:217], v[100:101], v[216:217]            // 000000007B5C: D3B140D8 1803B164
	v_pk_mul_f32 v[218:219], v[100:101], v[218:219]            // 000000007B64: D3B140DA 1803B564
	v_cvt_f32_i32_e32 v220, v220                               // 000000007B6C: 7FB80BDC
	v_cvt_f32_i32_e32 v221, v221                               // 000000007B70: 7FBA0BDD
	v_cvt_f32_i32_e32 v222, v222                               // 000000007B74: 7FBC0BDE
	v_cvt_f32_i32_e32 v223, v223                               // 000000007B78: 7FBE0BDF
	v_pk_mul_f32 v[220:221], v[98:99], v[220:221]              // 000000007B7C: D3B140DC 1803B962
	v_pk_mul_f32 v[222:223], v[98:99], v[222:223]              // 000000007B84: D3B140DE 1803BD62
	v_mul_f32_dpp v220, v12, v220 row_newbcast:12 row_mask:0xf bank_mask:0xf// 000000007B8C: 0BB9B8FA FF015C0C
	v_mul_f32_dpp v221, v12, v221 row_newbcast:13 row_mask:0xf bank_mask:0xf// 000000007B94: 0BBBBAFA FF015D0C
	v_mul_f32_dpp v222, v12, v222 row_newbcast:14 row_mask:0xf bank_mask:0xf// 000000007B9C: 0BBDBCFA FF015E0C
	v_mul_f32_dpp v223, v12, v223 row_newbcast:15 row_mask:0xf bank_mask:0xf// 000000007BA4: 0BBFBEFA FF015F0C
	v_pk_mul_f32 v[220:221], v[102:103], v[220:221]            // 000000007BAC: D3B140DC 1803B966
	v_pk_mul_f32 v[222:223], v[102:103], v[222:223]            // 000000007BB4: D3B140DE 1803BD66
	v_cvt_pkrtz_f16_f32 v192, v192, v193                       // 000000007BBC: D29600C0 000383C0
	v_cvt_pkrtz_f16_f32 v193, v194, v195                       // 000000007BC4: D29600C1 000387C2
	v_cvt_pkrtz_f16_f32 v194, v196, v197                       // 000000007BCC: D29600C2 00038BC4
	v_cvt_pkrtz_f16_f32 v195, v198, v199                       // 000000007BD4: D29600C3 00038FC6
	v_cvt_pkrtz_f16_f32 v196, v200, v201                       // 000000007BDC: D29600C4 000393C8
	v_cvt_pkrtz_f16_f32 v197, v202, v203                       // 000000007BE4: D29600C5 000397CA
	v_cvt_pkrtz_f16_f32 v198, v204, v205                       // 000000007BEC: D29600C6 00039BCC
	v_cvt_pkrtz_f16_f32 v199, v206, v207                       // 000000007BF4: D29600C7 00039FCE
	v_cvt_pkrtz_f16_f32 v200, v208, v209                       // 000000007BFC: D29600C8 0003A3D0
	v_cvt_pkrtz_f16_f32 v201, v210, v211                       // 000000007C04: D29600C9 0003A7D2
	v_cvt_pkrtz_f16_f32 v202, v212, v213                       // 000000007C0C: D29600CA 0003ABD4
	v_cvt_pkrtz_f16_f32 v203, v214, v215                       // 000000007C14: D29600CB 0003AFD6
	v_cvt_pkrtz_f16_f32 v204, v216, v217                       // 000000007C1C: D29600CC 0003B3D8
	v_cvt_pkrtz_f16_f32 v205, v218, v219                       // 000000007C24: D29600CD 0003B7DA
	v_cvt_pkrtz_f16_f32 v206, v220, v221                       // 000000007C2C: D29600CE 0003BBDC
	v_cvt_pkrtz_f16_f32 v207, v222, v223                       // 000000007C34: D29600CF 0003BFDE
	s_mov_b64 exec, s[20:21]                                   // 000000007C3C: BEFE0114
	global_atomic_pk_add_f16 v80, v64, s[8:9]                  // 000000007C40: DD388000 00084050
	s_mov_b64 exec, s[36:37]                                   // 000000007C48: BEFE0124
	s_mov_b64 exec, s[20:21]                                   // 000000007C4C: BEFE0114
	global_atomic_pk_add_f16 v80, v65, s[8:9] offset:256       // 000000007C50: DD388100 00084150
	s_mov_b64 exec, s[36:37]                                   // 000000007C58: BEFE0124
	s_mov_b64 exec, s[22:23]                                   // 000000007C5C: BEFE0116
	global_atomic_pk_add_f16 v82, v66, s[8:9]                  // 000000007C60: DD388000 00084252
	s_mov_b64 exec, s[36:37]                                   // 000000007C68: BEFE0124
	s_mov_b64 exec, s[22:23]                                   // 000000007C6C: BEFE0116
	global_atomic_pk_add_f16 v82, v67, s[8:9] offset:256       // 000000007C70: DD388100 00084352
	s_mov_b64 exec, s[36:37]                                   // 000000007C78: BEFE0124
	s_mov_b64 exec, s[24:25]                                   // 000000007C7C: BEFE0118
	global_atomic_pk_add_f16 v84, v68, s[8:9]                  // 000000007C80: DD388000 00084454
	s_mov_b64 exec, s[36:37]                                   // 000000007C88: BEFE0124
	s_mov_b64 exec, s[24:25]                                   // 000000007C8C: BEFE0118
	global_atomic_pk_add_f16 v84, v69, s[8:9] offset:256       // 000000007C90: DD388100 00084554
	s_mov_b64 exec, s[36:37]                                   // 000000007C98: BEFE0124
	s_mov_b64 exec, s[26:27]                                   // 000000007C9C: BEFE011A
	global_atomic_pk_add_f16 v86, v70, s[8:9]                  // 000000007CA0: DD388000 00084656
	s_mov_b64 exec, s[36:37]                                   // 000000007CA8: BEFE0124
	s_mov_b64 exec, s[26:27]                                   // 000000007CAC: BEFE011A
	global_atomic_pk_add_f16 v86, v71, s[8:9] offset:256       // 000000007CB0: DD388100 00084756
	s_mov_b64 exec, s[36:37]                                   // 000000007CB8: BEFE0124
	s_mov_b64 exec, s[28:29]                                   // 000000007CBC: BEFE011C
	global_atomic_pk_add_f16 v88, v72, s[8:9]                  // 000000007CC0: DD388000 00084858
	s_mov_b64 exec, s[36:37]                                   // 000000007CC8: BEFE0124
	s_mov_b64 exec, s[28:29]                                   // 000000007CCC: BEFE011C
	global_atomic_pk_add_f16 v88, v73, s[8:9] offset:256       // 000000007CD0: DD388100 00084958
	s_mov_b64 exec, s[36:37]                                   // 000000007CD8: BEFE0124
	s_mov_b64 exec, s[30:31]                                   // 000000007CDC: BEFE011E
	global_atomic_pk_add_f16 v90, v74, s[8:9]                  // 000000007CE0: DD388000 00084A5A
	s_mov_b64 exec, s[36:37]                                   // 000000007CE8: BEFE0124
	s_mov_b64 exec, s[30:31]                                   // 000000007CEC: BEFE011E
	global_atomic_pk_add_f16 v90, v75, s[8:9] offset:256       // 000000007CF0: DD388100 00084B5A
	s_mov_b64 exec, s[36:37]                                   // 000000007CF8: BEFE0124
	s_mov_b64 exec, s[32:33]                                   // 000000007CFC: BEFE0120
	global_atomic_pk_add_f16 v92, v76, s[8:9]                  // 000000007D00: DD388000 00084C5C
	s_mov_b64 exec, s[36:37]                                   // 000000007D08: BEFE0124
	s_mov_b64 exec, s[32:33]                                   // 000000007D0C: BEFE0120
	global_atomic_pk_add_f16 v92, v77, s[8:9] offset:256       // 000000007D10: DD388100 00084D5C
	s_mov_b64 exec, s[36:37]                                   // 000000007D18: BEFE0124
	s_mov_b64 exec, s[34:35]                                   // 000000007D1C: BEFE0122
	global_atomic_pk_add_f16 v94, v78, s[8:9]                  // 000000007D20: DD388000 00084E5E
	s_mov_b64 exec, s[36:37]                                   // 000000007D28: BEFE0124
	s_mov_b64 exec, s[34:35]                                   // 000000007D2C: BEFE0122
	global_atomic_pk_add_f16 v94, v79, s[8:9] offset:256       // 000000007D30: DD388100 00084F5E
	s_mov_b64 exec, s[36:37]                                   // 000000007D38: BEFE0124
	s_cmp_ge_u32 s80, 0x200                                    // 000000007D3C: BF09FF50 00000200
	s_cselect_b32 s59, 0x200, s59                              // 000000007D44: 853B3BFF 00000200
	s_add_u32 s8, s59, s8                                      // 000000007D4C: 8008083B
	s_addc_u32 s9, 0, s9                                       // 000000007D50: 82090980
	s_addk_i32 s80, 0x100                                      // 000000007D54: B7500100
	s_cmp_lt_i32 s80, s81                                      // 000000007D58: BF045150
	s_cbranch_scc0 label_166D                                  // 000000007D5C: BF840295
	s_waitcnt vmcnt(41) lgkmcnt(0)                             // 000000007D60: BF8C8079
	s_barrier                                                  // 000000007D64: BF8A0000
	v_mfma_i32_16x16x32_i8 v[224:227], a[128:129], v[128:129], 0// 000000007D68: D3D700E0 0A030180
	ds_read_b32 v64, v4 offset:35840                           // 000000007D70: D86C8C00 40000004
	ds_read_b32 v65, v4 offset:40192                           // 000000007D78: D86C9D00 41000004
	v_mfma_i32_16x16x32_i8 v[224:227], a[130:131], v[130:131], v[224:227]// 000000007D80: D3D700E0 0F830582
	buffer_load_dwordx4 a[0:3], v48, s[12:15], 0 offen         // 000000007D88: E05C1000 80830030
	v_mfma_i32_16x16x32_i8 v[224:227], a[132:133], v[132:133], v[224:227]// 000000007D90: D3D700E0 0F830984
	ds_read_b32 v66, v4 offset:35872                           // 000000007D98: D86C8C20 42000004
	ds_read_b32 v67, v4 offset:40224                           // 000000007DA0: D86C9D20 43000004
	v_mfma_i32_16x16x32_i8 v[224:227], a[134:135], v[134:135], v[224:227]// 000000007DA8: D3D700E0 0F830D86
	v_mfma_i32_16x16x32_i8 v[224:227], a[136:137], v[136:137], v[224:227]// 000000007DB0: D3D700E0 0F831188
	ds_read_b32 v68, v4 offset:35904                           // 000000007DB8: D86C8C40 44000004
	ds_read_b32 v69, v4 offset:40256                           // 000000007DC0: D86C9D40 45000004
	v_mfma_i32_16x16x32_i8 v[224:227], a[138:139], v[138:139], v[224:227]// 000000007DC8: D3D700E0 0F83158A
	buffer_load_dwordx4 a[4:7], v48, s[12:15], 0 offen offset:1024// 000000007DD0: E05C1400 80830430
	v_mfma_i32_16x16x32_i8 v[224:227], a[140:141], v[140:141], v[224:227]// 000000007DD8: D3D700E0 0F83198C
	ds_read_b32 v70, v4 offset:35936                           // 000000007DE0: D86C8C60 46000004
	ds_read_b32 v71, v4 offset:40288                           // 000000007DE8: D86C9D60 47000004
	v_mfma_i32_16x16x32_i8 v[224:227], a[142:143], v[142:143], v[224:227]// 000000007DF0: D3D700E0 0F831D8E
	v_mfma_i32_16x16x32_i8 v[228:231], a[128:129], v[160:161], 0// 000000007DF8: D3D700E4 0A034180
	ds_read_b32 v72, v4 offset:44544                           // 000000007E00: D86CAE00 48000004
	ds_read_b32 v73, v4 offset:48896                           // 000000007E08: D86CBF00 49000004
	v_mfma_i32_16x16x32_i8 v[228:231], a[130:131], v[162:163], v[228:231]// 000000007E10: D3D700E4 0F934582
	buffer_load_dwordx4 a[8:11], v48, s[12:15], 0 offen offset:2048// 000000007E18: E05C1800 80830830
	v_mfma_i32_16x16x32_i8 v[228:231], a[132:133], v[164:165], v[228:231]// 000000007E20: D3D700E4 0F934984
	ds_read_b32 v74, v4 offset:44576                           // 000000007E28: D86CAE20 4A000004
	ds_read_b32 v75, v4 offset:48928                           // 000000007E30: D86CBF20 4B000004
	v_mfma_i32_16x16x32_i8 v[228:231], a[134:135], v[166:167], v[228:231]// 000000007E38: D3D700E4 0F934D86
	v_mfma_i32_16x16x32_i8 v[228:231], a[136:137], v[168:169], v[228:231]// 000000007E40: D3D700E4 0F935188
	ds_read_b32 v76, v4 offset:44608                           // 000000007E48: D86CAE40 4C000004
	ds_read_b32 v77, v4 offset:48960                           // 000000007E50: D86CBF40 4D000004
	v_mfma_i32_16x16x32_i8 v[228:231], a[138:139], v[170:171], v[228:231]// 000000007E58: D3D700E4 0F93558A
	buffer_load_dwordx4 a[12:15], v48, s[12:15], 0 offen offset:3072// 000000007E60: E05C1C00 80830C30
	v_mfma_i32_16x16x32_i8 v[228:231], a[140:141], v[172:173], v[228:231]// 000000007E68: D3D700E4 0F93598C
	ds_read_b32 v78, v4 offset:44640                           // 000000007E70: D86CAE60 4E000004
	ds_read_b32 v79, v4 offset:48992                           // 000000007E78: D86CBF60 4F000004
	v_mfma_i32_16x16x32_i8 v[228:231], a[142:143], v[174:175], v[228:231]// 000000007E80: D3D700E4 0F935D8E
	v_mfma_i32_16x16x32_i8 v[232:235], a[144:145], v[128:129], 0// 000000007E88: D3D700E8 0A030190
	v_mfma_i32_16x16x32_i8 v[232:235], a[146:147], v[130:131], v[232:235]// 000000007E90: D3D700E8 0FA30592
	buffer_load_dwordx4 a[16:19], v49, s[12:15], 0 offen       // 000000007E98: E05C1000 80831031
	v_mfma_i32_16x16x32_i8 v[232:235], a[148:149], v[132:133], v[232:235]// 000000007EA0: D3D700E8 0FA30994
	v_mfma_i32_16x16x32_i8 v[232:235], a[150:151], v[134:135], v[232:235]// 000000007EA8: D3D700E8 0FA30D96
	v_mfma_i32_16x16x32_i8 v[232:235], a[152:153], v[136:137], v[232:235]// 000000007EB0: D3D700E8 0FA31198
	v_mfma_i32_16x16x32_i8 v[232:235], a[154:155], v[138:139], v[232:235]// 000000007EB8: D3D700E8 0FA3159A
	buffer_load_dwordx4 a[20:23], v49, s[12:15], 0 offen offset:1024// 000000007EC0: E05C1400 80831431
	v_mfma_i32_16x16x32_i8 v[232:235], a[156:157], v[140:141], v[232:235]// 000000007EC8: D3D700E8 0FA3199C
	v_mfma_i32_16x16x32_i8 v[232:235], a[158:159], v[142:143], v[232:235]// 000000007ED0: D3D700E8 0FA31D9E
	v_mfma_i32_16x16x32_i8 v[236:239], a[144:145], v[160:161], 0// 000000007ED8: D3D700EC 0A034190
	v_mfma_i32_16x16x32_i8 v[236:239], a[146:147], v[162:163], v[236:239]// 000000007EE0: D3D700EC 0FB34592
	buffer_load_dwordx4 a[24:27], v49, s[12:15], 0 offen offset:2048// 000000007EE8: E05C1800 80831831
	v_mfma_i32_16x16x32_i8 v[236:239], a[148:149], v[164:165], v[236:239]// 000000007EF0: D3D700EC 0FB34994
	v_mfma_i32_16x16x32_i8 v[236:239], a[150:151], v[166:167], v[236:239]// 000000007EF8: D3D700EC 0FB34D96
	v_mfma_i32_16x16x32_i8 v[236:239], a[152:153], v[168:169], v[236:239]// 000000007F00: D3D700EC 0FB35198
	v_mfma_i32_16x16x32_i8 v[236:239], a[154:155], v[170:171], v[236:239]// 000000007F08: D3D700EC 0FB3559A
	buffer_load_dwordx4 a[28:31], v49, s[12:15], 0 offen offset:3072// 000000007F10: E05C1C00 80831C31
	v_mfma_i32_16x16x32_i8 v[236:239], a[156:157], v[172:173], v[236:239]// 000000007F18: D3D700EC 0FB3599C
	v_mfma_i32_16x16x32_i8 v[236:239], a[158:159], v[174:175], v[236:239]// 000000007F20: D3D700EC 0FB35D9E
	s_waitcnt vmcnt(41)                                        // 000000007F28: BF8C8F79
	v_mfma_i32_16x16x32_i8 v[240:243], a[160:161], v[128:129], 0// 000000007F2C: D3D700F0 0A0301A0
	v_mfma_i32_16x16x32_i8 v[240:243], a[162:163], v[130:131], v[240:243]// 000000007F34: D3D700F0 0FC305A2
	buffer_load_dwordx4 a[32:35], v50, s[12:15], 0 offen       // 000000007F3C: E05C1000 80832032
	v_mfma_i32_16x16x32_i8 v[240:243], a[164:165], v[132:133], v[240:243]// 000000007F44: D3D700F0 0FC309A4
	v_mfma_i32_16x16x32_i8 v[240:243], a[166:167], v[134:135], v[240:243]// 000000007F4C: D3D700F0 0FC30DA6
	v_mfma_i32_16x16x32_i8 v[240:243], a[168:169], v[136:137], v[240:243]// 000000007F54: D3D700F0 0FC311A8
	v_mfma_i32_16x16x32_i8 v[240:243], a[170:171], v[138:139], v[240:243]// 000000007F5C: D3D700F0 0FC315AA
	buffer_load_dwordx4 a[36:39], v50, s[12:15], 0 offen offset:1024// 000000007F64: E05C1400 80832432
	v_mfma_i32_16x16x32_i8 v[240:243], a[172:173], v[140:141], v[240:243]// 000000007F6C: D3D700F0 0FC319AC
	v_mfma_i32_16x16x32_i8 v[240:243], a[174:175], v[142:143], v[240:243]// 000000007F74: D3D700F0 0FC31DAE
	v_mfma_i32_16x16x32_i8 v[244:247], a[160:161], v[160:161], 0// 000000007F7C: D3D700F4 0A0341A0
	v_mfma_i32_16x16x32_i8 v[244:247], a[162:163], v[162:163], v[244:247]// 000000007F84: D3D700F4 0FD345A2
	buffer_load_dwordx4 a[40:43], v50, s[12:15], 0 offen offset:2048// 000000007F8C: E05C1800 80832832
	v_mfma_i32_16x16x32_i8 v[244:247], a[164:165], v[164:165], v[244:247]// 000000007F94: D3D700F4 0FD349A4
	v_mfma_i32_16x16x32_i8 v[244:247], a[166:167], v[166:167], v[244:247]// 000000007F9C: D3D700F4 0FD34DA6
	v_mfma_i32_16x16x32_i8 v[244:247], a[168:169], v[168:169], v[244:247]// 000000007FA4: D3D700F4 0FD351A8
	v_mfma_i32_16x16x32_i8 v[244:247], a[170:171], v[170:171], v[244:247]// 000000007FAC: D3D700F4 0FD355AA
	buffer_load_dwordx4 a[44:47], v50, s[12:15], 0 offen offset:3072// 000000007FB4: E05C1C00 80832C32
	v_mfma_i32_16x16x32_i8 v[244:247], a[172:173], v[172:173], v[244:247]// 000000007FBC: D3D700F4 0FD359AC
	v_mfma_i32_16x16x32_i8 v[244:247], a[174:175], v[174:175], v[244:247]// 000000007FC4: D3D700F4 0FD35DAE
	v_mfma_i32_16x16x32_i8 v[248:251], a[176:177], v[128:129], 0// 000000007FCC: D3D700F8 0A0301B0
	v_mfma_i32_16x16x32_i8 v[248:251], a[178:179], v[130:131], v[248:251]// 000000007FD4: D3D700F8 0FE305B2
	buffer_load_dwordx4 a[48:51], v51, s[12:15], 0 offen       // 000000007FDC: E05C1000 80833033
	v_mfma_i32_16x16x32_i8 v[248:251], a[180:181], v[132:133], v[248:251]// 000000007FE4: D3D700F8 0FE309B4
	v_mfma_i32_16x16x32_i8 v[248:251], a[182:183], v[134:135], v[248:251]// 000000007FEC: D3D700F8 0FE30DB6
	v_mfma_i32_16x16x32_i8 v[248:251], a[184:185], v[136:137], v[248:251]// 000000007FF4: D3D700F8 0FE311B8
	v_mfma_i32_16x16x32_i8 v[248:251], a[186:187], v[138:139], v[248:251]// 000000007FFC: D3D700F8 0FE315BA
	buffer_load_dwordx4 a[52:55], v51, s[12:15], 0 offen offset:1024// 000000008004: E05C1400 80833433
	v_mfma_i32_16x16x32_i8 v[248:251], a[188:189], v[140:141], v[248:251]// 00000000800C: D3D700F8 0FE319BC
	v_mfma_i32_16x16x32_i8 v[248:251], a[190:191], v[142:143], v[248:251]// 000000008014: D3D700F8 0FE31DBE
	v_mfma_i32_16x16x32_i8 v[252:255], a[176:177], v[160:161], 0// 00000000801C: D3D700FC 0A0341B0
	v_mfma_i32_16x16x32_i8 v[252:255], a[178:179], v[162:163], v[252:255]// 000000008024: D3D700FC 0FF345B2
	buffer_load_dwordx4 a[56:59], v51, s[12:15], 0 offen offset:2048// 00000000802C: E05C1800 80833833
	v_mfma_i32_16x16x32_i8 v[252:255], a[180:181], v[164:165], v[252:255]// 000000008034: D3D700FC 0FF349B4
	v_mfma_i32_16x16x32_i8 v[252:255], a[182:183], v[166:167], v[252:255]// 00000000803C: D3D700FC 0FF34DB6
	v_mfma_i32_16x16x32_i8 v[252:255], a[184:185], v[168:169], v[252:255]// 000000008044: D3D700FC 0FF351B8
	v_mfma_i32_16x16x32_i8 v[252:255], a[186:187], v[170:171], v[252:255]// 00000000804C: D3D700FC 0FF355BA
	buffer_load_dwordx4 a[60:63], v51, s[12:15], 0 offen offset:3072// 000000008054: E05C1C00 80833C33
	s_add_u32 s12, s78, s12                                    // 00000000805C: 800C0C4E
	s_addc_u32 s13, 0, s13                                     // 000000008060: 820D0D80
	v_mfma_i32_16x16x32_i8 v[252:255], a[188:189], v[172:173], v[252:255]// 000000008064: D3D700FC 0FF359BC
	v_mfma_i32_16x16x32_i8 v[252:255], a[190:191], v[174:175], v[252:255]// 00000000806C: D3D700FC 0FF35DBE
	s_waitcnt vmcnt(41)                                        // 000000008074: BF8C8F79
	v_mfma_i32_16x16x32_i8 v[224:227], a[192:193], v[144:145], v[224:227]// 000000008078: D3D700E0 0F8321C0
	ds_write_b64 v3, v[192:193] offset:18432                   // 000000008080: D89A4800 0000C003
	v_mfma_i32_16x16x32_i8 v[224:227], a[194:195], v[146:147], v[224:227]// 000000008088: D3D700E0 0F8325C2
	buffer_load_dwordx4 a[64:67], v48, s[12:15], 0 offen       // 000000008090: E05C1000 80834030
	v_mfma_i32_16x16x32_i8 v[224:227], a[196:197], v[148:149], v[224:227]// 000000008098: D3D700E0 0F8329C4
	ds_write_b64 v3, v[194:195] offset:27136                   // 0000000080A0: D89A6A00 0000C203
	v_mfma_i32_16x16x32_i8 v[224:227], a[198:199], v[150:151], v[224:227]// 0000000080A8: D3D700E0 0F832DC6
	v_mfma_i32_16x16x32_i8 v[224:227], a[200:201], v[152:153], v[224:227]// 0000000080B0: D3D700E0 0F8331C8
	ds_write_b64 v3, v[196:197] offset:20608                   // 0000000080B8: D89A5080 0000C403
	v_mfma_i32_16x16x32_i8 v[224:227], a[202:203], v[154:155], v[224:227]// 0000000080C0: D3D700E0 0F8335CA
	buffer_load_dwordx4 a[68:71], v48, s[12:15], 0 offen offset:1024// 0000000080C8: E05C1400 80834430
	v_mfma_i32_16x16x32_i8 v[224:227], a[204:205], v[156:157], v[224:227]// 0000000080D0: D3D700E0 0F8339CC
	ds_write_b64 v3, v[198:199] offset:29312                   // 0000000080D8: D89A7280 0000C603
	v_mfma_i32_16x16x32_i8 v[224:227], a[206:207], v[158:159], v[224:227]// 0000000080E0: D3D700E0 0F833DCE
	v_mfma_i32_16x16x32_i8 v[228:231], a[192:193], v[176:177], v[228:231]// 0000000080E8: D3D700E4 0F9361C0
	ds_write_b64 v3, v[200:201] offset:22784                   // 0000000080F0: D89A5900 0000C803
	v_mfma_i32_16x16x32_i8 v[228:231], a[194:195], v[178:179], v[228:231]// 0000000080F8: D3D700E4 0F9365C2
	buffer_load_dwordx4 a[72:75], v48, s[12:15], 0 offen offset:2048// 000000008100: E05C1800 80834830
	v_mfma_i32_16x16x32_i8 v[228:231], a[196:197], v[180:181], v[228:231]// 000000008108: D3D700E4 0F9369C4
	ds_write_b64 v3, v[202:203] offset:31488                   // 000000008110: D89A7B00 0000CA03
	v_mfma_i32_16x16x32_i8 v[228:231], a[198:199], v[182:183], v[228:231]// 000000008118: D3D700E4 0F936DC6
	v_mfma_i32_16x16x32_i8 v[228:231], a[200:201], v[184:185], v[228:231]// 000000008120: D3D700E4 0F9371C8
	ds_write_b64 v3, v[204:205] offset:24960                   // 000000008128: D89A6180 0000CC03
	v_mfma_i32_16x16x32_i8 v[228:231], a[202:203], v[186:187], v[228:231]// 000000008130: D3D700E4 0F9375CA
	buffer_load_dwordx4 a[76:79], v48, s[12:15], 0 offen offset:3072// 000000008138: E05C1C00 80834C30
	v_mfma_i32_16x16x32_i8 v[228:231], a[204:205], v[188:189], v[228:231]// 000000008140: D3D700E4 0F9379CC
	ds_write_b64 v3, v[206:207] offset:33664                   // 000000008148: D89A8380 0000CE03
	v_mfma_i32_16x16x32_i8 v[228:231], a[206:207], v[190:191], v[228:231]// 000000008150: D3D700E4 0F937DCE
	v_mfma_i32_16x16x32_i8 v[232:235], a[208:209], v[144:145], v[232:235]// 000000008158: D3D700E8 0FA321D0
	v_mfma_i32_16x16x32_i8 v[232:235], a[210:211], v[146:147], v[232:235]// 000000008160: D3D700E8 0FA325D2
	buffer_load_dwordx4 a[80:83], v49, s[12:15], 0 offen       // 000000008168: E05C1000 80835031
	v_mfma_i32_16x16x32_i8 v[232:235], a[212:213], v[148:149], v[232:235]// 000000008170: D3D700E8 0FA329D4
	v_mfma_i32_16x16x32_i8 v[232:235], a[214:215], v[150:151], v[232:235]// 000000008178: D3D700E8 0FA32DD6
	v_mfma_i32_16x16x32_i8 v[232:235], a[216:217], v[152:153], v[232:235]// 000000008180: D3D700E8 0FA331D8
	v_mfma_i32_16x16x32_i8 v[232:235], a[218:219], v[154:155], v[232:235]// 000000008188: D3D700E8 0FA335DA
	buffer_load_dwordx4 a[84:87], v49, s[12:15], 0 offen offset:1024// 000000008190: E05C1400 80835431
	v_mfma_i32_16x16x32_i8 v[232:235], a[220:221], v[156:157], v[232:235]// 000000008198: D3D700E8 0FA339DC
	v_mfma_i32_16x16x32_i8 v[232:235], a[222:223], v[158:159], v[232:235]// 0000000081A0: D3D700E8 0FA33DDE
	v_mfma_i32_16x16x32_i8 v[236:239], a[208:209], v[176:177], v[236:239]// 0000000081A8: D3D700EC 0FB361D0
	v_mfma_i32_16x16x32_i8 v[236:239], a[210:211], v[178:179], v[236:239]// 0000000081B0: D3D700EC 0FB365D2
	buffer_load_dwordx4 a[88:91], v49, s[12:15], 0 offen offset:2048// 0000000081B8: E05C1800 80835831
	v_mfma_i32_16x16x32_i8 v[236:239], a[212:213], v[180:181], v[236:239]// 0000000081C0: D3D700EC 0FB369D4
	v_mfma_i32_16x16x32_i8 v[236:239], a[214:215], v[182:183], v[236:239]// 0000000081C8: D3D700EC 0FB36DD6
	v_mfma_i32_16x16x32_i8 v[236:239], a[216:217], v[184:185], v[236:239]// 0000000081D0: D3D700EC 0FB371D8
	v_mfma_i32_16x16x32_i8 v[236:239], a[218:219], v[186:187], v[236:239]// 0000000081D8: D3D700EC 0FB375DA
	buffer_load_dwordx4 a[92:95], v49, s[12:15], 0 offen offset:3072// 0000000081E0: E05C1C00 80835C31
	v_mfma_i32_16x16x32_i8 v[236:239], a[220:221], v[188:189], v[236:239]// 0000000081E8: D3D700EC 0FB379DC
	v_mfma_i32_16x16x32_i8 v[236:239], a[222:223], v[190:191], v[236:239]// 0000000081F0: D3D700EC 0FB37DDE
	s_waitcnt vmcnt(40)                                        // 0000000081F8: BF8C8F78
	v_mfma_i32_16x16x32_i8 v[240:243], a[224:225], v[144:145], v[240:243]// 0000000081FC: D3D700F0 0FC321E0
	v_mfma_i32_16x16x32_i8 v[240:243], a[226:227], v[146:147], v[240:243]// 000000008204: D3D700F0 0FC325E2
	buffer_load_dwordx4 a[96:99], v50, s[12:15], 0 offen       // 00000000820C: E05C1000 80836032
	v_mfma_i32_16x16x32_i8 v[240:243], a[228:229], v[148:149], v[240:243]// 000000008214: D3D700F0 0FC329E4
	v_mfma_i32_16x16x32_i8 v[240:243], a[230:231], v[150:151], v[240:243]// 00000000821C: D3D700F0 0FC32DE6
	buffer_load_dword v12, v5, s[16:19], 0 offen               // 000000008224: E0501000 80040C05
	v_mfma_i32_16x16x32_i8 v[240:243], a[232:233], v[152:153], v[240:243]// 00000000822C: D3D700F0 0FC331E8
	v_mfma_i32_16x16x32_i8 v[240:243], a[234:235], v[154:155], v[240:243]// 000000008234: D3D700F0 0FC335EA
	buffer_load_dwordx4 a[100:103], v50, s[12:15], 0 offen offset:1024// 00000000823C: E05C1400 80836432
	v_mfma_i32_16x16x32_i8 v[240:243], a[236:237], v[156:157], v[240:243]// 000000008244: D3D700F0 0FC339EC
	v_mfma_i32_16x16x32_i8 v[240:243], a[238:239], v[158:159], v[240:243]// 00000000824C: D3D700F0 0FC33DEE
	v_mfma_i32_16x16x32_i8 v[244:247], a[224:225], v[176:177], v[244:247]// 000000008254: D3D700F4 0FD361E0
	v_mfma_i32_16x16x32_i8 v[244:247], a[226:227], v[178:179], v[244:247]// 00000000825C: D3D700F4 0FD365E2
	buffer_load_dwordx4 a[104:107], v50, s[12:15], 0 offen offset:2048// 000000008264: E05C1800 80836832
	v_mfma_i32_16x16x32_i8 v[244:247], a[228:229], v[180:181], v[244:247]// 00000000826C: D3D700F4 0FD369E4
	s_add_u32 s60, 0x200, s80                                  // 000000008274: 803C50FF 00000200
	s_cmp_lt_u32 s60, s81                                      // 00000000827C: BF0A513C
	v_mfma_i32_16x16x32_i8 v[244:247], a[230:231], v[182:183], v[244:247]// 000000008280: D3D700F4 0FD36DE6
	s_cselect_b32 s56, s56, 0                                  // 000000008288: 85388038
	s_cselect_b32 s78, s78, 0                                  // 00000000828C: 854E804E
	s_cselect_b32 s79, s79, 0                                  // 000000008290: 854F804F
	v_mfma_i32_16x16x32_i8 v[244:247], a[232:233], v[184:185], v[244:247]// 000000008294: D3D700F4 0FD371E8
	v_mfma_i32_16x16x32_i8 v[244:247], a[234:235], v[186:187], v[244:247]// 00000000829C: D3D700F4 0FD375EA
	buffer_load_dwordx4 a[108:111], v50, s[12:15], 0 offen offset:3072// 0000000082A4: E05C1C00 80836C32
	v_mfma_i32_16x16x32_i8 v[244:247], a[236:237], v[188:189], v[244:247]// 0000000082AC: D3D700F4 0FD379EC
	s_add_u32 s16, s79, s16                                    // 0000000082B4: 8010104F
	s_addc_u32 s17, 0, s17                                     // 0000000082B8: 82111180
	v_mfma_i32_16x16x32_i8 v[244:247], a[238:239], v[190:191], v[244:247]// 0000000082BC: D3D700F4 0FD37DEE
	v_mfma_i32_16x16x32_i8 v[248:251], a[240:241], v[144:145], v[248:251]// 0000000082C4: D3D700F8 0FE321F0
	v_mfma_i32_16x16x32_i8 v[248:251], a[242:243], v[146:147], v[248:251]// 0000000082CC: D3D700F8 0FE325F2
	buffer_load_dwordx4 a[112:115], v51, s[12:15], 0 offen     // 0000000082D4: E05C1000 80837033
	v_mfma_i32_16x16x32_i8 v[248:251], a[244:245], v[148:149], v[248:251]// 0000000082DC: D3D700F8 0FE329F4
	v_mfma_i32_16x16x32_i8 v[248:251], a[246:247], v[150:151], v[248:251]// 0000000082E4: D3D700F8 0FE32DF6
	v_mfma_i32_16x16x32_i8 v[248:251], a[248:249], v[152:153], v[248:251]// 0000000082EC: D3D700F8 0FE331F8
	v_mfma_i32_16x16x32_i8 v[248:251], a[250:251], v[154:155], v[248:251]// 0000000082F4: D3D700F8 0FE335FA
	buffer_load_dwordx4 a[116:119], v51, s[12:15], 0 offen offset:1024// 0000000082FC: E05C1400 80837433
	v_mfma_i32_16x16x32_i8 v[248:251], a[252:253], v[156:157], v[248:251]// 000000008304: D3D700F8 0FE339FC
	v_mfma_i32_16x16x32_i8 v[248:251], a[254:255], v[158:159], v[248:251]// 00000000830C: D3D700F8 0FE33DFE
	v_mfma_i32_16x16x32_i8 v[252:255], a[240:241], v[176:177], v[252:255]// 000000008314: D3D700FC 0FF361F0
	v_mfma_i32_16x16x32_i8 v[252:255], a[242:243], v[178:179], v[252:255]// 00000000831C: D3D700FC 0FF365F2
	buffer_load_dwordx4 a[120:123], v51, s[12:15], 0 offen offset:2048// 000000008324: E05C1800 80837833
	v_mfma_i32_16x16x32_i8 v[252:255], a[244:245], v[180:181], v[252:255]// 00000000832C: D3D700FC 0FF369F4
	v_mfma_i32_16x16x32_i8 v[252:255], a[246:247], v[182:183], v[252:255]// 000000008334: D3D700FC 0FF36DF6
	v_mfma_i32_16x16x32_i8 v[252:255], a[248:249], v[184:185], v[252:255]// 00000000833C: D3D700FC 0FF371F8
	v_mfma_i32_16x16x32_i8 v[252:255], a[250:251], v[186:187], v[252:255]// 000000008344: D3D700FC 0FF375FA
	buffer_load_dwordx4 a[124:127], v51, s[12:15], 0 offen offset:3072// 00000000834C: E05C1C00 80837C33
	v_mfma_i32_16x16x32_i8 v[252:255], a[252:253], v[188:189], v[252:255]// 000000008354: D3D700FC 0FF379FC
	s_add_u32 s12, s56, s12                                    // 00000000835C: 800C0C38
	s_addc_u32 s13, 0, s13                                     // 000000008360: 820D0D80
	v_mfma_i32_16x16x32_i8 v[252:255], a[254:255], v[190:191], v[252:255]// 000000008364: D3D700FC 0FF37DFE
	v_mov_b32_e32 v96, v24                                     // 00000000836C: 7EC00318
	v_mov_b32_e32 v100, v20                                    // 000000008370: 7EC80314
	v_mov_b32_e32 v97, v24                                     // 000000008374: 7EC20318
	v_mov_b32_e32 v101, v20                                    // 000000008378: 7ECA0314
	v_mov_b32_e32 v98, v25                                     // 00000000837C: 7EC40319
	v_mov_b32_e32 v102, v21                                    // 000000008380: 7ECC0315
	v_mov_b32_e32 v99, v25                                     // 000000008384: 7EC60319
	v_mov_b32_e32 v103, v21                                    // 000000008388: 7ECE0315
	v_cvt_f32_i32_e32 v224, v224                               // 00000000838C: 7FC00BE0
	v_cvt_f32_i32_e32 v225, v225                               // 000000008390: 7FC20BE1
	v_cvt_f32_i32_e32 v226, v226                               // 000000008394: 7FC40BE2
	v_cvt_f32_i32_e32 v227, v227                               // 000000008398: 7FC60BE3
	v_pk_mul_f32 v[224:225], v[96:97], v[224:225]              // 00000000839C: D3B140E0 1803C160
	v_pk_mul_f32 v[226:227], v[96:97], v[226:227]              // 0000000083A4: D3B140E2 1803C560
	v_mul_f32_dpp v224, v13, v224 row_newbcast:0 row_mask:0xf bank_mask:0xf// 0000000083AC: 0BC1C0FA FF01500D
	v_mul_f32_dpp v225, v13, v225 row_newbcast:1 row_mask:0xf bank_mask:0xf// 0000000083B4: 0BC3C2FA FF01510D
	v_mul_f32_dpp v226, v13, v226 row_newbcast:2 row_mask:0xf bank_mask:0xf// 0000000083BC: 0BC5C4FA FF01520D
	v_mul_f32_dpp v227, v13, v227 row_newbcast:3 row_mask:0xf bank_mask:0xf// 0000000083C4: 0BC7C6FA FF01530D
	v_pk_mul_f32 v[224:225], v[100:101], v[224:225]            // 0000000083CC: D3B140E0 1803C164
	v_pk_mul_f32 v[226:227], v[100:101], v[226:227]            // 0000000083D4: D3B140E2 1803C564
	v_cvt_f32_i32_e32 v228, v228                               // 0000000083DC: 7FC80BE4
	v_cvt_f32_i32_e32 v229, v229                               // 0000000083E0: 7FCA0BE5
	v_cvt_f32_i32_e32 v230, v230                               // 0000000083E4: 7FCC0BE6
	v_cvt_f32_i32_e32 v231, v231                               // 0000000083E8: 7FCE0BE7
	v_pk_mul_f32 v[228:229], v[98:99], v[228:229]              // 0000000083EC: D3B140E4 1803C962
	v_pk_mul_f32 v[230:231], v[98:99], v[230:231]              // 0000000083F4: D3B140E6 1803CD62
	v_mul_f32_dpp v228, v13, v228 row_newbcast:0 row_mask:0xf bank_mask:0xf// 0000000083FC: 0BC9C8FA FF01500D
	v_mul_f32_dpp v229, v13, v229 row_newbcast:1 row_mask:0xf bank_mask:0xf// 000000008404: 0BCBCAFA FF01510D
	v_mul_f32_dpp v230, v13, v230 row_newbcast:2 row_mask:0xf bank_mask:0xf// 00000000840C: 0BCDCCFA FF01520D
	v_mul_f32_dpp v231, v13, v231 row_newbcast:3 row_mask:0xf bank_mask:0xf// 000000008414: 0BCFCEFA FF01530D
	v_pk_mul_f32 v[228:229], v[102:103], v[228:229]            // 00000000841C: D3B140E4 1803C966
	v_pk_mul_f32 v[230:231], v[102:103], v[230:231]            // 000000008424: D3B140E6 1803CD66
	v_cvt_f32_i32_e32 v232, v232                               // 00000000842C: 7FD00BE8
	v_cvt_f32_i32_e32 v233, v233                               // 000000008430: 7FD20BE9
	v_cvt_f32_i32_e32 v234, v234                               // 000000008434: 7FD40BEA
	v_cvt_f32_i32_e32 v235, v235                               // 000000008438: 7FD60BEB
	v_pk_mul_f32 v[232:233], v[96:97], v[232:233]              // 00000000843C: D3B140E8 1803D160
	v_pk_mul_f32 v[234:235], v[96:97], v[234:235]              // 000000008444: D3B140EA 1803D560
	v_mul_f32_dpp v232, v13, v232 row_newbcast:4 row_mask:0xf bank_mask:0xf// 00000000844C: 0BD1D0FA FF01540D
	v_mul_f32_dpp v233, v13, v233 row_newbcast:5 row_mask:0xf bank_mask:0xf// 000000008454: 0BD3D2FA FF01550D
	v_mul_f32_dpp v234, v13, v234 row_newbcast:6 row_mask:0xf bank_mask:0xf// 00000000845C: 0BD5D4FA FF01560D
	v_mul_f32_dpp v235, v13, v235 row_newbcast:7 row_mask:0xf bank_mask:0xf// 000000008464: 0BD7D6FA FF01570D
	v_pk_mul_f32 v[232:233], v[100:101], v[232:233]            // 00000000846C: D3B140E8 1803D164
	v_pk_mul_f32 v[234:235], v[100:101], v[234:235]            // 000000008474: D3B140EA 1803D564
	v_cvt_f32_i32_e32 v236, v236                               // 00000000847C: 7FD80BEC
	v_cvt_f32_i32_e32 v237, v237                               // 000000008480: 7FDA0BED
	v_cvt_f32_i32_e32 v238, v238                               // 000000008484: 7FDC0BEE
	v_cvt_f32_i32_e32 v239, v239                               // 000000008488: 7FDE0BEF
	v_pk_mul_f32 v[236:237], v[98:99], v[236:237]              // 00000000848C: D3B140EC 1803D962
	v_pk_mul_f32 v[238:239], v[98:99], v[238:239]              // 000000008494: D3B140EE 1803DD62
	v_mul_f32_dpp v236, v13, v236 row_newbcast:4 row_mask:0xf bank_mask:0xf// 00000000849C: 0BD9D8FA FF01540D
	v_mul_f32_dpp v237, v13, v237 row_newbcast:5 row_mask:0xf bank_mask:0xf// 0000000084A4: 0BDBDAFA FF01550D
	v_mul_f32_dpp v238, v13, v238 row_newbcast:6 row_mask:0xf bank_mask:0xf// 0000000084AC: 0BDDDCFA FF01560D
	v_mul_f32_dpp v239, v13, v239 row_newbcast:7 row_mask:0xf bank_mask:0xf// 0000000084B4: 0BDFDEFA FF01570D
	v_pk_mul_f32 v[236:237], v[102:103], v[236:237]            // 0000000084BC: D3B140EC 1803D966
	v_pk_mul_f32 v[238:239], v[102:103], v[238:239]            // 0000000084C4: D3B140EE 1803DD66
	v_cvt_f32_i32_e32 v240, v240                               // 0000000084CC: 7FE00BF0
	v_cvt_f32_i32_e32 v241, v241                               // 0000000084D0: 7FE20BF1
	v_cvt_f32_i32_e32 v242, v242                               // 0000000084D4: 7FE40BF2
	v_cvt_f32_i32_e32 v243, v243                               // 0000000084D8: 7FE60BF3
	v_pk_mul_f32 v[240:241], v[96:97], v[240:241]              // 0000000084DC: D3B140F0 1803E160
	v_pk_mul_f32 v[242:243], v[96:97], v[242:243]              // 0000000084E4: D3B140F2 1803E560
	v_mul_f32_dpp v240, v13, v240 row_newbcast:8 row_mask:0xf bank_mask:0xf// 0000000084EC: 0BE1E0FA FF01580D
	v_mul_f32_dpp v241, v13, v241 row_newbcast:9 row_mask:0xf bank_mask:0xf// 0000000084F4: 0BE3E2FA FF01590D
	v_mul_f32_dpp v242, v13, v242 row_newbcast:10 row_mask:0xf bank_mask:0xf// 0000000084FC: 0BE5E4FA FF015A0D
	v_mul_f32_dpp v243, v13, v243 row_newbcast:11 row_mask:0xf bank_mask:0xf// 000000008504: 0BE7E6FA FF015B0D
	v_pk_mul_f32 v[240:241], v[100:101], v[240:241]            // 00000000850C: D3B140F0 1803E164
	v_pk_mul_f32 v[242:243], v[100:101], v[242:243]            // 000000008514: D3B140F2 1803E564
	v_cvt_f32_i32_e32 v244, v244                               // 00000000851C: 7FE80BF4
	v_cvt_f32_i32_e32 v245, v245                               // 000000008520: 7FEA0BF5
	v_cvt_f32_i32_e32 v246, v246                               // 000000008524: 7FEC0BF6
	v_cvt_f32_i32_e32 v247, v247                               // 000000008528: 7FEE0BF7
	v_pk_mul_f32 v[244:245], v[98:99], v[244:245]              // 00000000852C: D3B140F4 1803E962
	v_pk_mul_f32 v[246:247], v[98:99], v[246:247]              // 000000008534: D3B140F6 1803ED62
	v_mul_f32_dpp v244, v13, v244 row_newbcast:8 row_mask:0xf bank_mask:0xf// 00000000853C: 0BE9E8FA FF01580D
	v_mul_f32_dpp v245, v13, v245 row_newbcast:9 row_mask:0xf bank_mask:0xf// 000000008544: 0BEBEAFA FF01590D
	v_mul_f32_dpp v246, v13, v246 row_newbcast:10 row_mask:0xf bank_mask:0xf// 00000000854C: 0BEDECFA FF015A0D
	v_mul_f32_dpp v247, v13, v247 row_newbcast:11 row_mask:0xf bank_mask:0xf// 000000008554: 0BEFEEFA FF015B0D
	v_pk_mul_f32 v[244:245], v[102:103], v[244:245]            // 00000000855C: D3B140F4 1803E966
	v_pk_mul_f32 v[246:247], v[102:103], v[246:247]            // 000000008564: D3B140F6 1803ED66
	v_cvt_f32_i32_e32 v248, v248                               // 00000000856C: 7FF00BF8
	v_cvt_f32_i32_e32 v249, v249                               // 000000008570: 7FF20BF9
	v_cvt_f32_i32_e32 v250, v250                               // 000000008574: 7FF40BFA
	v_cvt_f32_i32_e32 v251, v251                               // 000000008578: 7FF60BFB
	v_pk_mul_f32 v[248:249], v[96:97], v[248:249]              // 00000000857C: D3B140F8 1803F160
	v_pk_mul_f32 v[250:251], v[96:97], v[250:251]              // 000000008584: D3B140FA 1803F560
	v_mul_f32_dpp v248, v13, v248 row_newbcast:12 row_mask:0xf bank_mask:0xf// 00000000858C: 0BF1F0FA FF015C0D
	v_mul_f32_dpp v249, v13, v249 row_newbcast:13 row_mask:0xf bank_mask:0xf// 000000008594: 0BF3F2FA FF015D0D
	v_mul_f32_dpp v250, v13, v250 row_newbcast:14 row_mask:0xf bank_mask:0xf// 00000000859C: 0BF5F4FA FF015E0D
	v_mul_f32_dpp v251, v13, v251 row_newbcast:15 row_mask:0xf bank_mask:0xf// 0000000085A4: 0BF7F6FA FF015F0D
	v_pk_mul_f32 v[248:249], v[100:101], v[248:249]            // 0000000085AC: D3B140F8 1803F164
	v_pk_mul_f32 v[250:251], v[100:101], v[250:251]            // 0000000085B4: D3B140FA 1803F564
	v_cvt_f32_i32_e32 v252, v252                               // 0000000085BC: 7FF80BFC
	v_cvt_f32_i32_e32 v253, v253                               // 0000000085C0: 7FFA0BFD
	v_cvt_f32_i32_e32 v254, v254                               // 0000000085C4: 7FFC0BFE
	v_cvt_f32_i32_e32 v255, v255                               // 0000000085C8: 7FFE0BFF
	v_pk_mul_f32 v[252:253], v[98:99], v[252:253]              // 0000000085CC: D3B140FC 1803F962
	v_pk_mul_f32 v[254:255], v[98:99], v[254:255]              // 0000000085D4: D3B140FE 1803FD62
	v_mul_f32_dpp v252, v13, v252 row_newbcast:12 row_mask:0xf bank_mask:0xf// 0000000085DC: 0BF9F8FA FF015C0D
	v_mul_f32_dpp v253, v13, v253 row_newbcast:13 row_mask:0xf bank_mask:0xf// 0000000085E4: 0BFBFAFA FF015D0D
	v_mul_f32_dpp v254, v13, v254 row_newbcast:14 row_mask:0xf bank_mask:0xf// 0000000085EC: 0BFDFCFA FF015E0D
	v_mul_f32_dpp v255, v13, v255 row_newbcast:15 row_mask:0xf bank_mask:0xf// 0000000085F4: 0BFFFEFA FF015F0D
	v_pk_mul_f32 v[252:253], v[102:103], v[252:253]            // 0000000085FC: D3B140FC 1803F966
	v_pk_mul_f32 v[254:255], v[102:103], v[254:255]            // 000000008604: D3B140FE 1803FD66
	v_cvt_pkrtz_f16_f32 v224, v224, v225                       // 00000000860C: D29600E0 0003C3E0
	v_cvt_pkrtz_f16_f32 v225, v226, v227                       // 000000008614: D29600E1 0003C7E2
	v_cvt_pkrtz_f16_f32 v226, v228, v229                       // 00000000861C: D29600E2 0003CBE4
	v_cvt_pkrtz_f16_f32 v227, v230, v231                       // 000000008624: D29600E3 0003CFE6
	v_cvt_pkrtz_f16_f32 v228, v232, v233                       // 00000000862C: D29600E4 0003D3E8
	v_cvt_pkrtz_f16_f32 v229, v234, v235                       // 000000008634: D29600E5 0003D7EA
	v_cvt_pkrtz_f16_f32 v230, v236, v237                       // 00000000863C: D29600E6 0003DBEC
	v_cvt_pkrtz_f16_f32 v231, v238, v239                       // 000000008644: D29600E7 0003DFEE
	v_cvt_pkrtz_f16_f32 v232, v240, v241                       // 00000000864C: D29600E8 0003E3F0
	v_cvt_pkrtz_f16_f32 v233, v242, v243                       // 000000008654: D29600E9 0003E7F2
	v_cvt_pkrtz_f16_f32 v234, v244, v245                       // 00000000865C: D29600EA 0003EBF4
	v_cvt_pkrtz_f16_f32 v235, v246, v247                       // 000000008664: D29600EB 0003EFF6
	v_cvt_pkrtz_f16_f32 v236, v248, v249                       // 00000000866C: D29600EC 0003F3F8
	v_cvt_pkrtz_f16_f32 v237, v250, v251                       // 000000008674: D29600ED 0003F7FA
	v_cvt_pkrtz_f16_f32 v238, v252, v253                       // 00000000867C: D29600EE 0003FBFC
	v_cvt_pkrtz_f16_f32 v239, v254, v255                       // 000000008684: D29600EF 0003FFFE
	s_mov_b64 exec, s[20:21]                                   // 00000000868C: BEFE0114
	global_atomic_pk_add_f16 v80, v64, s[8:9]                  // 000000008690: DD388000 00084050
	s_mov_b64 exec, s[36:37]                                   // 000000008698: BEFE0124
	s_mov_b64 exec, s[20:21]                                   // 00000000869C: BEFE0114
	global_atomic_pk_add_f16 v80, v65, s[8:9] offset:256       // 0000000086A0: DD388100 00084150
	s_mov_b64 exec, s[36:37]                                   // 0000000086A8: BEFE0124
	s_mov_b64 exec, s[22:23]                                   // 0000000086AC: BEFE0116
	global_atomic_pk_add_f16 v82, v66, s[8:9]                  // 0000000086B0: DD388000 00084252
	s_mov_b64 exec, s[36:37]                                   // 0000000086B8: BEFE0124
	s_mov_b64 exec, s[22:23]                                   // 0000000086BC: BEFE0116
	global_atomic_pk_add_f16 v82, v67, s[8:9] offset:256       // 0000000086C0: DD388100 00084352
	s_mov_b64 exec, s[36:37]                                   // 0000000086C8: BEFE0124
	s_mov_b64 exec, s[24:25]                                   // 0000000086CC: BEFE0118
	global_atomic_pk_add_f16 v84, v68, s[8:9]                  // 0000000086D0: DD388000 00084454
	s_mov_b64 exec, s[36:37]                                   // 0000000086D8: BEFE0124
	s_mov_b64 exec, s[24:25]                                   // 0000000086DC: BEFE0118
	global_atomic_pk_add_f16 v84, v69, s[8:9] offset:256       // 0000000086E0: DD388100 00084554
	s_mov_b64 exec, s[36:37]                                   // 0000000086E8: BEFE0124
	s_mov_b64 exec, s[26:27]                                   // 0000000086EC: BEFE011A
	global_atomic_pk_add_f16 v86, v70, s[8:9]                  // 0000000086F0: DD388000 00084656
	s_mov_b64 exec, s[36:37]                                   // 0000000086F8: BEFE0124
	s_mov_b64 exec, s[26:27]                                   // 0000000086FC: BEFE011A
	global_atomic_pk_add_f16 v86, v71, s[8:9] offset:256       // 000000008700: DD388100 00084756
	s_mov_b64 exec, s[36:37]                                   // 000000008708: BEFE0124
	s_mov_b64 exec, s[28:29]                                   // 00000000870C: BEFE011C
	global_atomic_pk_add_f16 v88, v72, s[8:9]                  // 000000008710: DD388000 00084858
	s_mov_b64 exec, s[36:37]                                   // 000000008718: BEFE0124
	s_mov_b64 exec, s[28:29]                                   // 00000000871C: BEFE011C
	global_atomic_pk_add_f16 v88, v73, s[8:9] offset:256       // 000000008720: DD388100 00084958
	s_mov_b64 exec, s[36:37]                                   // 000000008728: BEFE0124
	s_mov_b64 exec, s[30:31]                                   // 00000000872C: BEFE011E
	global_atomic_pk_add_f16 v90, v74, s[8:9]                  // 000000008730: DD388000 00084A5A
	s_mov_b64 exec, s[36:37]                                   // 000000008738: BEFE0124
	s_mov_b64 exec, s[30:31]                                   // 00000000873C: BEFE011E
	global_atomic_pk_add_f16 v90, v75, s[8:9] offset:256       // 000000008740: DD388100 00084B5A
	s_mov_b64 exec, s[36:37]                                   // 000000008748: BEFE0124
	s_mov_b64 exec, s[32:33]                                   // 00000000874C: BEFE0120
	global_atomic_pk_add_f16 v92, v76, s[8:9]                  // 000000008750: DD388000 00084C5C
	s_mov_b64 exec, s[36:37]                                   // 000000008758: BEFE0124
	s_mov_b64 exec, s[32:33]                                   // 00000000875C: BEFE0120
	global_atomic_pk_add_f16 v92, v77, s[8:9] offset:256       // 000000008760: DD388100 00084D5C
	s_mov_b64 exec, s[36:37]                                   // 000000008768: BEFE0124
	s_mov_b64 exec, s[34:35]                                   // 00000000876C: BEFE0122
	global_atomic_pk_add_f16 v94, v78, s[8:9]                  // 000000008770: DD388000 00084E5E
	s_mov_b64 exec, s[36:37]                                   // 000000008778: BEFE0124
	s_mov_b64 exec, s[34:35]                                   // 00000000877C: BEFE0122
	global_atomic_pk_add_f16 v94, v79, s[8:9] offset:256       // 000000008780: DD388100 00084F5E
	s_mov_b64 exec, s[36:37]                                   // 000000008788: BEFE0124
	s_cmp_ge_u32 s80, 0x200                                    // 00000000878C: BF09FF50 00000200
	s_cselect_b32 s59, 0x200, s59                              // 000000008794: 853B3BFF 00000200
	s_add_u32 s8, s59, s8                                      // 00000000879C: 8008083B
	s_addc_u32 s9, 0, s9                                       // 0000000087A0: 82090980
	s_addk_i32 s80, 0x100                                      // 0000000087A4: B7500100
	s_cmp_lt_i32 s80, s81                                      // 0000000087A8: BF045150
	s_cbranch_scc0 label_166D                                  // 0000000087AC: BF840001
	s_branch label_1144                                        // 0000000087B0: BF82FAD7

00000000000087b4 <label_166D>:
	s_nop 0                                                    // 0000000087B4: BF800000
	s_nop 0                                                    // 0000000087B8: BF800000
	s_branch label_28E8                                        // 0000000087BC: BF821278

00000000000087c0 <label_1670>:
	s_waitcnt vmcnt(24) lgkmcnt(0)                             // 0000000087C0: BF8C4078
	s_barrier                                                  // 0000000087C4: BF8A0000
	v_mfma_i32_16x16x32_i8 v[128:131], a[0:1], v[192:193], 0   // 0000000087C8: D3D70080 0A038100
	buffer_load_dwordx4 a[128:131], v36, s[24:27], 0 offen     // 0000000087D0: E05C1000 80868024
	v_mfma_i32_16x16x32_i8 v[128:131], a[2:3], v[194:195], v[128:131]// 0000000087D8: D3D70080 0E038502
	ds_read_b64 v[224:225], v2 offset:35072                    // 0000000087E0: D8EC8900 E0000002
	ds_read_b64 v[228:229], v2 offset:43392                    // 0000000087E8: D8ECA980 E4000002
	v_mfma_i32_16x16x32_i8 v[128:131], a[4:5], v[196:197], v[128:131]// 0000000087F0: D3D70080 0E038904
	buffer_load_dword v28, s[20:23], 0 offen lds               // 0000000087F8: E0511000 8005001C
	buffer_load_dword v28, s[20:23], 0 offen offset:256 lds    // 000000008800: E0511100 8005001C
	s_add_u32 m0, 0x820, s50                                   // 000000008808: 807C32FF 00000820
	buffer_load_dword v14, v6, s[28:31], 0 offen               // 000000008810: E0501000 80070E06
	v_mfma_i32_16x16x32_i8 v[128:131], a[6:7], v[198:199], v[128:131]// 000000008818: D3D70080 0E038D06
	ds_read_b64 v[232:233], v2 offset:35200                    // 000000008820: D8EC8980 E8000002
	ds_read_b64 v[236:237], v2 offset:43520                    // 000000008828: D8ECAA00 EC000002
	v_mfma_i32_16x16x32_i8 v[128:131], a[8:9], v[200:201], v[128:131]// 000000008830: D3D70080 0E039108
	buffer_load_dwordx4 a[132:135], v36, s[24:27], 0 offen offset:1024// 000000008838: E05C1400 80868424
	v_mfma_i32_16x16x32_i8 v[128:131], a[10:11], v[202:203], v[128:131]// 000000008840: D3D70080 0E03950A
	ds_read_b64 v[240:241], v2 offset:35328                    // 000000008848: D8EC8A00 F0000002
	ds_read_b64 v[244:245], v2 offset:43648                    // 000000008850: D8ECAA80 F4000002
	v_mfma_i32_16x16x32_i8 v[128:131], a[12:13], v[204:205], v[128:131]// 000000008858: D3D70080 0E03990C
	buffer_load_dword v29, s[20:23], 0 offen lds               // 000000008860: E0511000 8005001D
	buffer_load_dword v29, s[20:23], 0 offen offset:256 lds    // 000000008868: E0511100 8005001D
	s_add_u32 m0, 0x1040, s50                                  // 000000008870: 807C32FF 00001040
	v_mfma_i32_16x16x32_i8 v[128:131], a[14:15], v[206:207], v[128:131]// 000000008878: D3D70080 0E039D0E
	ds_read_b64 v[248:249], v2 offset:35456                    // 000000008880: D8EC8A80 F8000002
	ds_read_b64 v[252:253], v2 offset:43776                    // 000000008888: D8ECAB00 FC000002
	s_waitcnt lgkmcnt(4)                                       // 000000008890: BF8CC47F
	v_and_b32_e32 v227, 0xffff0000, v225                       // 000000008894: 27C7C2FF FFFF0000
	v_lshlrev_b32_e32 v226, 16, v225                           // 00000000889C: 25C5C290
	v_and_b32_e32 v225, 0xffff0000, v224                       // 0000000088A0: 27C3C0FF FFFF0000
	v_lshlrev_b32_e32 v224, 16, v224                           // 0000000088A8: 25C1C090
	v_and_b32_e32 v231, 0xffff0000, v229                       // 0000000088AC: 27CFCAFF FFFF0000
	v_lshlrev_b32_e32 v230, 16, v229                           // 0000000088B4: 25CDCA90
	v_and_b32_e32 v229, 0xffff0000, v228                       // 0000000088B8: 27CBC8FF FFFF0000
	v_lshlrev_b32_e32 v228, 16, v228                           // 0000000088C0: 25C9C890
	v_and_b32_e32 v235, 0xffff0000, v233                       // 0000000088C4: 27D7D2FF FFFF0000
	v_lshlrev_b32_e32 v234, 16, v233                           // 0000000088CC: 25D5D290
	v_and_b32_e32 v233, 0xffff0000, v232                       // 0000000088D0: 27D3D0FF FFFF0000
	v_lshlrev_b32_e32 v232, 16, v232                           // 0000000088D8: 25D1D090
	v_and_b32_e32 v239, 0xffff0000, v237                       // 0000000088DC: 27DFDAFF FFFF0000
	v_lshlrev_b32_e32 v238, 16, v237                           // 0000000088E4: 25DDDA90
	v_and_b32_e32 v237, 0xffff0000, v236                       // 0000000088E8: 27DBD8FF FFFF0000
	v_lshlrev_b32_e32 v236, 16, v236                           // 0000000088F0: 25D9D890
	v_mul_f32_dpp v224, v15, v224 row_newbcast:0 row_mask:0xf bank_mask:0xf// 0000000088F4: 0BC1C0FA FF01500F
	v_mul_f32_dpp v225, v15, v225 row_newbcast:1 row_mask:0xf bank_mask:0xf// 0000000088FC: 0BC3C2FA FF01510F
	v_mul_f32_dpp v226, v15, v226 row_newbcast:2 row_mask:0xf bank_mask:0xf// 000000008904: 0BC5C4FA FF01520F
	v_mul_f32_dpp v227, v15, v227 row_newbcast:3 row_mask:0xf bank_mask:0xf// 00000000890C: 0BC7C6FA FF01530F
	v_mul_f32_dpp v228, v15, v228 row_newbcast:0 row_mask:0xf bank_mask:0xf// 000000008914: 0BC9C8FA FF01500F
	v_mul_f32_dpp v229, v15, v229 row_newbcast:1 row_mask:0xf bank_mask:0xf// 00000000891C: 0BCBCAFA FF01510F
	v_mul_f32_dpp v230, v15, v230 row_newbcast:2 row_mask:0xf bank_mask:0xf// 000000008924: 0BCDCCFA FF01520F
	v_mul_f32_dpp v231, v15, v231 row_newbcast:3 row_mask:0xf bank_mask:0xf// 00000000892C: 0BCFCEFA FF01530F
	v_mul_f32_dpp v232, v15, v232 row_newbcast:4 row_mask:0xf bank_mask:0xf// 000000008934: 0BD1D0FA FF01540F
	v_mul_f32_dpp v233, v15, v233 row_newbcast:5 row_mask:0xf bank_mask:0xf// 00000000893C: 0BD3D2FA FF01550F
	v_mul_f32_dpp v234, v15, v234 row_newbcast:6 row_mask:0xf bank_mask:0xf// 000000008944: 0BD5D4FA FF01560F
	v_mul_f32_dpp v235, v15, v235 row_newbcast:7 row_mask:0xf bank_mask:0xf// 00000000894C: 0BD7D6FA FF01570F
	v_mul_f32_dpp v236, v15, v236 row_newbcast:4 row_mask:0xf bank_mask:0xf// 000000008954: 0BD9D8FA FF01540F
	v_mul_f32_dpp v237, v15, v237 row_newbcast:5 row_mask:0xf bank_mask:0xf// 00000000895C: 0BDBDAFA FF01550F
	v_mul_f32_dpp v238, v15, v238 row_newbcast:6 row_mask:0xf bank_mask:0xf// 000000008964: 0BDDDCFA FF01560F
	v_mul_f32_dpp v239, v15, v239 row_newbcast:7 row_mask:0xf bank_mask:0xf// 00000000896C: 0BDFDEFA FF01570F
	v_mfma_i32_16x16x32_i8 v[132:135], a[0:1], v[208:209], 0   // 000000008974: D3D70084 0A03A100
	buffer_load_dwordx4 a[136:139], v36, s[24:27], 0 offen offset:2048// 00000000897C: E05C1800 80868824
	v_mfma_i32_16x16x32_i8 v[132:135], a[2:3], v[210:211], v[132:135]// 000000008984: D3D70084 0E13A502
	v_mfma_i32_16x16x32_i8 v[132:135], a[4:5], v[212:213], v[132:135]// 00000000898C: D3D70084 0E13A904
	buffer_load_dword v30, s[20:23], 0 offen lds               // 000000008994: E0511000 8005001E
	buffer_load_dword v30, s[20:23], 0 offen offset:256 lds    // 00000000899C: E0511100 8005001E
	s_add_u32 m0, 0x1860, s50                                  // 0000000089A4: 807C32FF 00001860
	v_mfma_i32_16x16x32_i8 v[132:135], a[6:7], v[214:215], v[132:135]// 0000000089AC: D3D70084 0E13AD06
	v_mfma_i32_16x16x32_i8 v[132:135], a[8:9], v[216:217], v[132:135]// 0000000089B4: D3D70084 0E13B108
	buffer_load_dwordx4 a[140:143], v36, s[24:27], 0 offen offset:3072// 0000000089BC: E05C1C00 80868C24
	v_mfma_i32_16x16x32_i8 v[132:135], a[10:11], v[218:219], v[132:135]// 0000000089C4: D3D70084 0E13B50A
	v_mfma_i32_16x16x32_i8 v[132:135], a[12:13], v[220:221], v[132:135]// 0000000089CC: D3D70084 0E13B90C
	buffer_load_dword v31, s[20:23], 0 offen lds               // 0000000089D4: E0511000 8005001F
	buffer_load_dword v31, s[20:23], 0 offen offset:256 lds    // 0000000089DC: E0511100 8005001F
	s_add_u32 m0, 0x2080, s50                                  // 0000000089E4: 807C32FF 00002080
	v_mfma_i32_16x16x32_i8 v[132:135], a[14:15], v[222:223], v[132:135]// 0000000089EC: D3D70084 0E13BD0E
	s_waitcnt lgkmcnt(0)                                       // 0000000089F4: BF8CC07F
	v_and_b32_e32 v243, 0xffff0000, v241                       // 0000000089F8: 27E7E2FF FFFF0000
	v_lshlrev_b32_e32 v242, 16, v241                           // 000000008A00: 25E5E290
	v_and_b32_e32 v241, 0xffff0000, v240                       // 000000008A04: 27E3E0FF FFFF0000
	v_lshlrev_b32_e32 v240, 16, v240                           // 000000008A0C: 25E1E090
	v_and_b32_e32 v247, 0xffff0000, v245                       // 000000008A10: 27EFEAFF FFFF0000
	v_lshlrev_b32_e32 v246, 16, v245                           // 000000008A18: 25EDEA90
	v_and_b32_e32 v245, 0xffff0000, v244                       // 000000008A1C: 27EBE8FF FFFF0000
	v_lshlrev_b32_e32 v244, 16, v244                           // 000000008A24: 25E9E890
	v_and_b32_e32 v251, 0xffff0000, v249                       // 000000008A28: 27F7F2FF FFFF0000
	v_lshlrev_b32_e32 v250, 16, v249                           // 000000008A30: 25F5F290
	v_and_b32_e32 v249, 0xffff0000, v248                       // 000000008A34: 27F3F0FF FFFF0000
	v_lshlrev_b32_e32 v248, 16, v248                           // 000000008A3C: 25F1F090
	v_and_b32_e32 v255, 0xffff0000, v253                       // 000000008A40: 27FFFAFF FFFF0000
	v_lshlrev_b32_e32 v254, 16, v253                           // 000000008A48: 25FDFA90
	v_and_b32_e32 v253, 0xffff0000, v252                       // 000000008A4C: 27FBF8FF FFFF0000
	v_lshlrev_b32_e32 v252, 16, v252                           // 000000008A54: 25F9F890
	v_mul_f32_dpp v240, v15, v240 row_newbcast:8 row_mask:0xf bank_mask:0xf// 000000008A58: 0BE1E0FA FF01580F
	v_mul_f32_dpp v241, v15, v241 row_newbcast:9 row_mask:0xf bank_mask:0xf// 000000008A60: 0BE3E2FA FF01590F
	v_mul_f32_dpp v242, v15, v242 row_newbcast:10 row_mask:0xf bank_mask:0xf// 000000008A68: 0BE5E4FA FF015A0F
	v_mul_f32_dpp v243, v15, v243 row_newbcast:11 row_mask:0xf bank_mask:0xf// 000000008A70: 0BE7E6FA FF015B0F
	v_mul_f32_dpp v244, v15, v244 row_newbcast:8 row_mask:0xf bank_mask:0xf// 000000008A78: 0BE9E8FA FF01580F
	v_mul_f32_dpp v245, v15, v245 row_newbcast:9 row_mask:0xf bank_mask:0xf// 000000008A80: 0BEBEAFA FF01590F
	v_mul_f32_dpp v246, v15, v246 row_newbcast:10 row_mask:0xf bank_mask:0xf// 000000008A88: 0BEDECFA FF015A0F
	v_mul_f32_dpp v247, v15, v247 row_newbcast:11 row_mask:0xf bank_mask:0xf// 000000008A90: 0BEFEEFA FF015B0F
	v_mul_f32_dpp v248, v15, v248 row_newbcast:12 row_mask:0xf bank_mask:0xf// 000000008A98: 0BF1F0FA FF015C0F
	v_mul_f32_dpp v249, v15, v249 row_newbcast:13 row_mask:0xf bank_mask:0xf// 000000008AA0: 0BF3F2FA FF015D0F
	v_mul_f32_dpp v250, v15, v250 row_newbcast:14 row_mask:0xf bank_mask:0xf// 000000008AA8: 0BF5F4FA FF015E0F
	v_mul_f32_dpp v251, v15, v251 row_newbcast:15 row_mask:0xf bank_mask:0xf// 000000008AB0: 0BF7F6FA FF015F0F
	v_mul_f32_dpp v252, v15, v252 row_newbcast:12 row_mask:0xf bank_mask:0xf// 000000008AB8: 0BF9F8FA FF015C0F
	v_mul_f32_dpp v253, v15, v253 row_newbcast:13 row_mask:0xf bank_mask:0xf// 000000008AC0: 0BFBFAFA FF015D0F
	v_mul_f32_dpp v254, v15, v254 row_newbcast:14 row_mask:0xf bank_mask:0xf// 000000008AC8: 0BFDFCFA FF015E0F
	v_mul_f32_dpp v255, v15, v255 row_newbcast:15 row_mask:0xf bank_mask:0xf// 000000008AD0: 0BFFFEFA FF015F0F
	v_mfma_i32_16x16x32_i8 v[136:139], a[16:17], v[192:193], 0 // 000000008AD8: D3D70088 0A038110
	buffer_load_dwordx4 a[144:147], v37, s[24:27], 0 offen     // 000000008AE0: E05C1000 80869025
	v_mfma_i32_16x16x32_i8 v[136:139], a[18:19], v[194:195], v[136:139]// 000000008AE8: D3D70088 0E238512
	v_mfma_i32_16x16x32_i8 v[136:139], a[20:21], v[196:197], v[136:139]// 000000008AF0: D3D70088 0E238914
	buffer_load_dword v32, s[20:23], 0 offen lds               // 000000008AF8: E0511000 80050020
	buffer_load_dword v32, s[20:23], 0 offen offset:256 lds    // 000000008B00: E0511100 80050020
	s_add_u32 m0, 0x28a0, s50                                  // 000000008B08: 807C32FF 000028A0
	v_mfma_i32_16x16x32_i8 v[136:139], a[22:23], v[198:199], v[136:139]// 000000008B10: D3D70088 0E238D16
	v_mfma_i32_16x16x32_i8 v[136:139], a[24:25], v[200:201], v[136:139]// 000000008B18: D3D70088 0E239118
	buffer_load_dwordx4 a[148:151], v37, s[24:27], 0 offen offset:1024// 000000008B20: E05C1400 80869425
	v_mfma_i32_16x16x32_i8 v[136:139], a[26:27], v[202:203], v[136:139]// 000000008B28: D3D70088 0E23951A
	v_mfma_i32_16x16x32_i8 v[136:139], a[28:29], v[204:205], v[136:139]// 000000008B30: D3D70088 0E23991C
	buffer_load_dword v33, s[20:23], 0 offen lds               // 000000008B38: E0511000 80050021
	buffer_load_dword v33, s[20:23], 0 offen offset:256 lds    // 000000008B40: E0511100 80050021
	s_add_u32 m0, 0x30c0, s50                                  // 000000008B48: 807C32FF 000030C0
	v_mfma_i32_16x16x32_i8 v[136:139], a[30:31], v[206:207], v[136:139]// 000000008B50: D3D70088 0E239D1E
	v_mov_b32_e32 v48, 0x358637bd                              // 000000008B58: 7E6002FF 358637BD
	v_mov_b32_e32 v49, 0x358637bd                              // 000000008B60: 7E6202FF 358637BD
	v_max3_f32 v48, |v224|, |v225|, v48                        // 000000008B68: D1D30330 04C3C3E0
	v_max3_f32 v48, |v226|, |v227|, v48                        // 000000008B70: D1D30330 04C3C7E2
	v_max3_f32 v49, |v228|, |v229|, v49                        // 000000008B78: D1D30331 04C7CBE4
	v_max3_f32 v49, |v230|, |v231|, v49                        // 000000008B80: D1D30331 04C7CFE6
	v_max3_f32 v48, |v232|, |v233|, v48                        // 000000008B88: D1D30330 04C3D3E8
	v_max3_f32 v48, |v234|, |v235|, v48                        // 000000008B90: D1D30330 04C3D7EA
	v_max3_f32 v49, |v236|, |v237|, v49                        // 000000008B98: D1D30331 04C7DBEC
	v_max3_f32 v49, |v238|, |v239|, v49                        // 000000008BA0: D1D30331 04C7DFEE
	v_max3_f32 v48, |v240|, |v241|, v48                        // 000000008BA8: D1D30330 04C3E3F0
	v_max3_f32 v48, |v242|, |v243|, v48                        // 000000008BB0: D1D30330 04C3E7F2
	v_max3_f32 v49, |v244|, |v245|, v49                        // 000000008BB8: D1D30331 04C7EBF4
	v_max3_f32 v49, |v246|, |v247|, v49                        // 000000008BC0: D1D30331 04C7EFF6
	v_max3_f32 v48, |v248|, |v249|, v48                        // 000000008BC8: D1D30330 04C3F3F8
	v_max3_f32 v48, |v250|, |v251|, v48                        // 000000008BD0: D1D30330 04C3F7FA
	v_max3_f32 v49, |v252|, |v253|, v49                        // 000000008BD8: D1D30331 04C7FBFC
	v_max3_f32 v49, |v254|, |v255|, v49                        // 000000008BE0: D1D30331 04C7FFFE
	v_mfma_i32_16x16x32_i8 v[140:143], a[16:17], v[208:209], 0 // 000000008BE8: D3D7008C 0A03A110
	buffer_load_dwordx4 a[152:155], v37, s[24:27], 0 offen offset:2048// 000000008BF0: E05C1800 80869825
	v_mfma_i32_16x16x32_i8 v[140:143], a[18:19], v[210:211], v[140:143]// 000000008BF8: D3D7008C 0E33A512
	ds_write_b64 v3, v[48:49]                                  // 000000008C00: D89A0000 00003003
	v_mfma_i32_16x16x32_i8 v[140:143], a[20:21], v[212:213], v[140:143]// 000000008C08: D3D7008C 0E33A914
	buffer_load_dword v34, s[20:23], 0 offen lds               // 000000008C10: E0511000 80050022
	buffer_load_dword v34, s[20:23], 0 offen offset:256 lds    // 000000008C18: E0511100 80050022
	s_add_u32 m0, 0x38e0, s50                                  // 000000008C20: 807C32FF 000038E0
	v_mfma_i32_16x16x32_i8 v[140:143], a[22:23], v[214:215], v[140:143]// 000000008C28: D3D7008C 0E33AD16
	v_mfma_i32_16x16x32_i8 v[140:143], a[24:25], v[216:217], v[140:143]// 000000008C30: D3D7008C 0E33B118
	buffer_load_dwordx4 a[156:159], v37, s[24:27], 0 offen offset:3072// 000000008C38: E05C1C00 80869C25
	v_mfma_i32_16x16x32_i8 v[140:143], a[26:27], v[218:219], v[140:143]// 000000008C40: D3D7008C 0E33B51A
	v_mfma_i32_16x16x32_i8 v[140:143], a[28:29], v[220:221], v[140:143]// 000000008C48: D3D7008C 0E33B91C
	buffer_load_dword v35, s[20:23], 0 offen lds               // 000000008C50: E0511000 80050023
	buffer_load_dword v35, s[20:23], 0 offen offset:256 lds    // 000000008C58: E0511100 80050023
	s_add_u32 m0, 0, s51                                       // 000000008C60: 807C3380
	v_mfma_i32_16x16x32_i8 v[140:143], a[30:31], v[222:223], v[140:143]// 000000008C64: D3D7008C 0E33BD1E
	s_waitcnt lgkmcnt(0)                                       // 000000008C6C: BF8CC07F
	s_barrier                                                  // 000000008C70: BF8A0000
	v_cvt_f32_i32_e32 v128, v128                               // 000000008C74: 7F000B80
	v_cvt_f32_i32_e32 v129, v129                               // 000000008C78: 7F020B81
	v_cvt_f32_i32_e32 v130, v130                               // 000000008C7C: 7F040B82
	v_cvt_f32_i32_e32 v131, v131                               // 000000008C80: 7F060B83
	v_cvt_f32_i32_e32 v132, v132                               // 000000008C84: 7F080B84
	v_cvt_f32_i32_e32 v133, v133                               // 000000008C88: 7F0A0B85
	v_cvt_f32_i32_e32 v134, v134                               // 000000008C8C: 7F0C0B86
	v_cvt_f32_i32_e32 v135, v135                               // 000000008C90: 7F0E0B87
	v_cvt_f32_i32_e32 v136, v136                               // 000000008C94: 7F100B88
	v_cvt_f32_i32_e32 v137, v137                               // 000000008C98: 7F120B89
	v_cvt_f32_i32_e32 v138, v138                               // 000000008C9C: 7F140B8A
	v_cvt_f32_i32_e32 v139, v139                               // 000000008CA0: 7F160B8B
	v_cvt_f32_i32_e32 v140, v140                               // 000000008CA4: 7F180B8C
	v_cvt_f32_i32_e32 v141, v141                               // 000000008CA8: 7F1A0B8D
	v_cvt_f32_i32_e32 v142, v142                               // 000000008CAC: 7F1C0B8E
	v_cvt_f32_i32_e32 v143, v143                               // 000000008CB0: 7F1E0B8F
	s_waitcnt vmcnt(40)                                        // 000000008CB4: BF8C8F78
	v_mfma_i32_16x16x32_i8 v[144:147], a[32:33], v[192:193], 0 // 000000008CB8: D3D70090 0A038120
	buffer_load_dwordx4 a[160:163], v38, s[24:27], 0 offen     // 000000008CC0: E05C1000 8086A026
	v_mfma_i32_16x16x32_i8 v[144:147], a[34:35], v[194:195], v[144:147]// 000000008CC8: D3D70090 0E438522
	ds_read_b64 v[48:49], v4                                   // 000000008CD0: D8EC0000 30000004
	ds_read_b64 v[50:51], v4 offset:128                        // 000000008CD8: D8EC0080 32000004
	v_mfma_i32_16x16x32_i8 v[144:147], a[36:37], v[196:197], v[144:147]// 000000008CE0: D3D70090 0E438924
	v_mfma_i32_16x16x32_i8 v[144:147], a[38:39], v[198:199], v[144:147]// 000000008CE8: D3D70090 0E438D26
	ds_read_b64 v[52:53], v4 offset:256                        // 000000008CF0: D8EC0100 34000004
	ds_read_b64 v[54:55], v4 offset:384                        // 000000008CF8: D8EC0180 36000004
	v_mfma_i32_16x16x32_i8 v[144:147], a[40:41], v[200:201], v[144:147]// 000000008D00: D3D70090 0E439128
	buffer_load_dwordx4 a[164:167], v38, s[24:27], 0 offen offset:1024// 000000008D08: E05C1400 8086A426
	v_mfma_i32_16x16x32_i8 v[144:147], a[42:43], v[202:203], v[144:147]// 000000008D10: D3D70090 0E43952A
	ds_read_b64 v[56:57], v4 offset:512                        // 000000008D18: D8EC0200 38000004
	ds_read_b64 v[58:59], v4 offset:640                        // 000000008D20: D8EC0280 3A000004
	v_mfma_i32_16x16x32_i8 v[144:147], a[44:45], v[204:205], v[144:147]// 000000008D28: D3D70090 0E43992C
	v_mfma_i32_16x16x32_i8 v[144:147], a[46:47], v[206:207], v[144:147]// 000000008D30: D3D70090 0E439D2E
	ds_read_b64 v[60:61], v4 offset:768                        // 000000008D38: D8EC0300 3C000004
	ds_read_b64 v[62:63], v4 offset:896                        // 000000008D40: D8EC0380 3E000004
	v_mov_b32_e32 v8, v25                                      // 000000008D48: 7E100319
	v_mov_b32_e32 v9, v25                                      // 000000008D4C: 7E120319
	v_mov_b32_e32 v25, v24                                     // 000000008D50: 7E320318
	v_pk_fma_f32 v[64:65], v[24:25], v[128:129], v[64:65]      // 000000008D54: D3B04040 1D030118
	v_pk_fma_f32 v[66:67], v[24:25], v[130:131], v[66:67]      // 000000008D5C: D3B04042 1D0B0518
	v_pk_fma_f32 v[68:69], v[8:9], v[132:133], v[68:69]        // 000000008D64: D3B04044 1D130908
	v_pk_fma_f32 v[70:71], v[8:9], v[134:135], v[70:71]        // 000000008D6C: D3B04046 1D1B0D08
	v_pk_fma_f32 v[72:73], v[24:25], v[136:137], v[72:73]      // 000000008D74: D3B04048 1D231118
	v_pk_fma_f32 v[74:75], v[24:25], v[138:139], v[74:75]      // 000000008D7C: D3B0404A 1D2B1518
	v_pk_fma_f32 v[76:77], v[8:9], v[140:141], v[76:77]        // 000000008D84: D3B0404C 1D331908
	v_pk_fma_f32 v[78:79], v[8:9], v[142:143], v[78:79]        // 000000008D8C: D3B0404E 1D3B1D08
	s_waitcnt lgkmcnt(0)                                       // 000000008D94: BF8CC07F
	v_mov_b32_e32 v22, 0x358637bd                              // 000000008D98: 7E2C02FF 358637BD
	v_mov_b32_e32 v23, 0x358637bd                              // 000000008DA0: 7E2E02FF 358637BD
	v_max3_f32 v22, |v48|, |v50|, v22                          // 000000008DA8: D1D30316 045A6530
	v_max3_f32 v23, |v49|, |v51|, v23                          // 000000008DB0: D1D30317 045E6731
	v_max3_f32 v22, |v52|, |v54|, v22                          // 000000008DB8: D1D30316 045A6D34
	v_max3_f32 v23, |v53|, |v55|, v23                          // 000000008DC0: D1D30317 045E6F35
	v_max3_f32 v22, |v56|, |v58|, v22                          // 000000008DC8: D1D30316 045A7538
	v_max3_f32 v23, |v57|, |v59|, v23                          // 000000008DD0: D1D30317 045E7739
	v_max3_f32 v22, |v60|, |v62|, v22                          // 000000008DD8: D1D30316 045A7D3C
	v_max3_f32 v23, |v61|, |v63|, v23                          // 000000008DE0: D1D30317 045E7F3D
	v_mfma_i32_16x16x32_i8 v[148:151], a[32:33], v[208:209], 0 // 000000008DE8: D3D70094 0A03A120
	buffer_load_dwordx4 a[168:171], v38, s[24:27], 0 offen offset:2048// 000000008DF0: E05C1800 8086A826
	v_mfma_i32_16x16x32_i8 v[148:151], a[34:35], v[210:211], v[148:151]// 000000008DF8: D3D70094 0E53A522
	ds_read_b64 v[48:49], v4 offset:1024                       // 000000008E00: D8EC0400 30000004
	ds_read_b64 v[50:51], v4 offset:1152                       // 000000008E08: D8EC0480 32000004
	v_mfma_i32_16x16x32_i8 v[148:151], a[36:37], v[212:213], v[148:151]// 000000008E10: D3D70094 0E53A924
	v_mfma_i32_16x16x32_i8 v[148:151], a[38:39], v[214:215], v[148:151]// 000000008E18: D3D70094 0E53AD26
	ds_read_b64 v[52:53], v4 offset:1280                       // 000000008E20: D8EC0500 34000004
	ds_read_b64 v[54:55], v4 offset:1408                       // 000000008E28: D8EC0580 36000004
	v_mfma_i32_16x16x32_i8 v[148:151], a[40:41], v[216:217], v[148:151]// 000000008E30: D3D70094 0E53B128
	buffer_load_dwordx4 a[172:175], v38, s[24:27], 0 offen offset:3072// 000000008E38: E05C1C00 8086AC26
	v_mfma_i32_16x16x32_i8 v[148:151], a[42:43], v[218:219], v[148:151]// 000000008E40: D3D70094 0E53B52A
	ds_read_b64 v[56:57], v4 offset:1536                       // 000000008E48: D8EC0600 38000004
	ds_read_b64 v[58:59], v4 offset:1664                       // 000000008E50: D8EC0680 3A000004
	v_mfma_i32_16x16x32_i8 v[148:151], a[44:45], v[220:221], v[148:151]// 000000008E58: D3D70094 0E53B92C
	v_mfma_i32_16x16x32_i8 v[148:151], a[46:47], v[222:223], v[148:151]// 000000008E60: D3D70094 0E53BD2E
	ds_read_b64 v[60:61], v4 offset:1792                       // 000000008E68: D8EC0700 3C000004
	ds_read_b64 v[62:63], v4 offset:1920                       // 000000008E70: D8EC0780 3E000004
	v_mfma_i32_16x16x32_i8 v[152:155], a[48:49], v[192:193], 0 // 000000008E78: D3D70098 0A038130
	buffer_load_dwordx4 a[176:179], v39, s[24:27], 0 offen     // 000000008E80: E05C1000 8086B027
	v_mfma_i32_16x16x32_i8 v[152:155], a[50:51], v[194:195], v[152:155]// 000000008E88: D3D70098 0E638532
	v_mfma_i32_16x16x32_i8 v[152:155], a[52:53], v[196:197], v[152:155]// 000000008E90: D3D70098 0E638934
	v_mfma_i32_16x16x32_i8 v[152:155], a[54:55], v[198:199], v[152:155]// 000000008E98: D3D70098 0E638D36
	v_mfma_i32_16x16x32_i8 v[152:155], a[56:57], v[200:201], v[152:155]// 000000008EA0: D3D70098 0E639138
	buffer_load_dwordx4 a[180:183], v39, s[24:27], 0 offen offset:1024// 000000008EA8: E05C1400 8086B427
	v_mfma_i32_16x16x32_i8 v[152:155], a[58:59], v[202:203], v[152:155]// 000000008EB0: D3D70098 0E63953A
	v_mfma_i32_16x16x32_i8 v[152:155], a[60:61], v[204:205], v[152:155]// 000000008EB8: D3D70098 0E63993C
	v_mfma_i32_16x16x32_i8 v[152:155], a[62:63], v[206:207], v[152:155]// 000000008EC0: D3D70098 0E639D3E
	s_waitcnt lgkmcnt(0)                                       // 000000008EC8: BF8CC07F
	v_max3_f32 v22, |v48|, |v50|, v22                          // 000000008ECC: D1D30316 045A6530
	v_max3_f32 v23, |v49|, |v51|, v23                          // 000000008ED4: D1D30317 045E6731
	v_max3_f32 v22, |v52|, |v54|, v22                          // 000000008EDC: D1D30316 045A6D34
	v_max3_f32 v23, |v53|, |v55|, v23                          // 000000008EE4: D1D30317 045E6F35
	v_max3_f32 v22, |v56|, |v58|, v22                          // 000000008EEC: D1D30316 045A7538
	v_max3_f32 v23, |v57|, |v59|, v23                          // 000000008EF4: D1D30317 045E7739
	v_max3_f32 v22, |v60|, |v62|, v22                          // 000000008EFC: D1D30316 045A7D3C
	v_max3_f32 v23, |v61|, |v63|, v23                          // 000000008F04: D1D30317 045E7F3D
	v_rcp_f32_e32 v22, v22                                     // 000000008F0C: 7E2C4516
	v_rcp_f32_e32 v23, v23                                     // 000000008F10: 7E2E4517
	s_nop 1                                                    // 000000008F14: BF800001
	v_mul_f32_e32 v22, 0x42fe0000, v22                         // 000000008F18: 0A2C2CFF 42FE0000
	v_mul_f32_e32 v23, 0x42fe0000, v23                         // 000000008F20: 0A2E2EFF 42FE0000
	v_rcp_f32_e32 v26, v22                                     // 000000008F28: 7E344516
	v_rcp_f32_e32 v27, v23                                     // 000000008F2C: 7E364517
	v_mfma_i32_16x16x32_i8 v[156:159], a[48:49], v[208:209], 0 // 000000008F30: D3D7009C 0A03A130
	buffer_load_dwordx4 a[184:187], v39, s[24:27], 0 offen offset:2048// 000000008F38: E05C1800 8086B827
	v_mfma_i32_16x16x32_i8 v[156:159], a[50:51], v[210:211], v[156:159]// 000000008F40: D3D7009C 0E73A532
	v_mfma_i32_16x16x32_i8 v[156:159], a[52:53], v[212:213], v[156:159]// 000000008F48: D3D7009C 0E73A934
	v_mfma_i32_16x16x32_i8 v[156:159], a[54:55], v[214:215], v[156:159]// 000000008F50: D3D7009C 0E73AD36
	v_mfma_i32_16x16x32_i8 v[156:159], a[56:57], v[216:217], v[156:159]// 000000008F58: D3D7009C 0E73B138
	buffer_load_dwordx4 a[188:191], v39, s[24:27], 0 offen offset:3072// 000000008F60: E05C1C00 8086BC27
	v_mfma_i32_16x16x32_i8 v[156:159], a[58:59], v[218:219], v[156:159]// 000000008F68: D3D7009C 0E73B53A
	v_mfma_i32_16x16x32_i8 v[156:159], a[60:61], v[220:221], v[156:159]// 000000008F70: D3D7009C 0E73B93C
	v_mfma_i32_16x16x32_i8 v[156:159], a[62:63], v[222:223], v[156:159]// 000000008F78: D3D7009C 0E73BD3E
	v_mul_f32_e32 v224, v22, v224                              // 000000008F80: 0BC1C116
	v_mul_f32_e32 v225, v22, v225                              // 000000008F84: 0BC3C316
	v_mul_f32_e32 v226, v22, v226                              // 000000008F88: 0BC5C516
	v_mul_f32_e32 v227, v22, v227                              // 000000008F8C: 0BC7C716
	v_cvt_i32_f32_e32 v224, v224                               // 000000008F90: 7FC011E0
	v_cvt_i32_f32_e32 v225, v225                               // 000000008F94: 7FC211E1
	v_cvt_i32_f32_e32 v226, v226                               // 000000008F98: 7FC411E2
	v_cvt_i32_f32_e32 v227, v227                               // 000000008F9C: 7FC611E3
	v_perm_b32 v224, v225, v224, s53                           // 000000008FA0: D1ED00E0 00D7C1E1
	v_perm_b32 v224, v226, v224, s54                           // 000000008FA8: D1ED00E0 00DBC1E2
	v_perm_b32 v224, v227, v224, s55                           // 000000008FB0: D1ED00E0 00DFC1E3
	v_mul_f32_e32 v228, v23, v228                              // 000000008FB8: 0BC9C917
	v_mul_f32_e32 v229, v23, v229                              // 000000008FBC: 0BCBCB17
	v_mul_f32_e32 v230, v23, v230                              // 000000008FC0: 0BCDCD17
	v_mul_f32_e32 v231, v23, v231                              // 000000008FC4: 0BCFCF17
	v_cvt_i32_f32_e32 v228, v228                               // 000000008FC8: 7FC811E4
	v_cvt_i32_f32_e32 v229, v229                               // 000000008FCC: 7FCA11E5
	v_cvt_i32_f32_e32 v230, v230                               // 000000008FD0: 7FCC11E6
	v_cvt_i32_f32_e32 v231, v231                               // 000000008FD4: 7FCE11E7
	v_perm_b32 v225, v229, v228, s53                           // 000000008FD8: D1ED00E1 00D7C9E5
	v_perm_b32 v225, v230, v225, s54                           // 000000008FE0: D1ED00E1 00DBC3E6
	v_perm_b32 v225, v231, v225, s55                           // 000000008FE8: D1ED00E1 00DFC3E7
	s_waitcnt vmcnt(40)                                        // 000000008FF0: BF8C8F78
	v_mfma_i32_16x16x32_i8 v[160:163], a[64:65], v[192:193], 0 // 000000008FF4: D3D700A0 0A038140
	buffer_load_dwordx4 a[192:195], v40, s[24:27], 0 offen     // 000000008FFC: E05C1000 8086C028
	v_mfma_i32_16x16x32_i8 v[160:163], a[66:67], v[194:195], v[160:163]// 000000009004: D3D700A0 0E838542
	v_mfma_i32_16x16x32_i8 v[160:163], a[68:69], v[196:197], v[160:163]// 00000000900C: D3D700A0 0E838944
	s_add_u32 s60, 0x300, s80                                  // 000000009014: 803C50FF 00000300
	s_cmp_lt_u32 s60, s81                                      // 00000000901C: BF0A513C
	s_cselect_b32 s57, s57, 0                                  // 000000009020: 85398039
	s_cselect_b32 s84, s84, 0                                  // 000000009024: 85548054
	v_mfma_i32_16x16x32_i8 v[160:163], a[70:71], v[198:199], v[160:163]// 000000009028: D3D700A0 0E838D46
	v_mfma_i32_16x16x32_i8 v[160:163], a[72:73], v[200:201], v[160:163]// 000000009030: D3D700A0 0E839148
	buffer_load_dwordx4 a[196:199], v40, s[24:27], 0 offen offset:1024// 000000009038: E05C1400 8086C428
	v_mfma_i32_16x16x32_i8 v[160:163], a[74:75], v[202:203], v[160:163]// 000000009040: D3D700A0 0E83954A
	v_mfma_i32_16x16x32_i8 v[160:163], a[76:77], v[204:205], v[160:163]// 000000009048: D3D700A0 0E83994C
	s_add_u32 s60, 0x200, s80                                  // 000000009050: 803C50FF 00000200
	s_cmp_lt_u32 s60, s81                                      // 000000009058: BF0A513C
	s_cselect_b32 s58, s58, 0                                  // 00000000905C: 853A803A
	v_mfma_i32_16x16x32_i8 v[160:163], a[78:79], v[206:207], v[160:163]// 000000009060: D3D700A0 0E839D4E
	v_mul_f32_e32 v232, v22, v232                              // 000000009068: 0BD1D116
	v_mul_f32_e32 v233, v22, v233                              // 00000000906C: 0BD3D316
	v_mul_f32_e32 v234, v22, v234                              // 000000009070: 0BD5D516
	v_mul_f32_e32 v235, v22, v235                              // 000000009074: 0BD7D716
	v_cvt_i32_f32_e32 v232, v232                               // 000000009078: 7FD011E8
	v_cvt_i32_f32_e32 v233, v233                               // 00000000907C: 7FD211E9
	v_cvt_i32_f32_e32 v234, v234                               // 000000009080: 7FD411EA
	v_cvt_i32_f32_e32 v235, v235                               // 000000009084: 7FD611EB
	v_perm_b32 v226, v233, v232, s53                           // 000000009088: D1ED00E2 00D7D1E9
	v_perm_b32 v226, v234, v226, s54                           // 000000009090: D1ED00E2 00DBC5EA
	v_perm_b32 v226, v235, v226, s55                           // 000000009098: D1ED00E2 00DFC5EB
	v_mul_f32_e32 v236, v23, v236                              // 0000000090A0: 0BD9D917
	v_mul_f32_e32 v237, v23, v237                              // 0000000090A4: 0BDBDB17
	v_mul_f32_e32 v238, v23, v238                              // 0000000090A8: 0BDDDD17
	v_mul_f32_e32 v239, v23, v239                              // 0000000090AC: 0BDFDF17
	v_cvt_i32_f32_e32 v236, v236                               // 0000000090B0: 7FD811EC
	v_cvt_i32_f32_e32 v237, v237                               // 0000000090B4: 7FDA11ED
	v_cvt_i32_f32_e32 v238, v238                               // 0000000090B8: 7FDC11EE
	v_cvt_i32_f32_e32 v239, v239                               // 0000000090BC: 7FDE11EF
	v_perm_b32 v227, v237, v236, s53                           // 0000000090C0: D1ED00E3 00D7D9ED
	v_perm_b32 v227, v238, v227, s54                           // 0000000090C8: D1ED00E3 00DBC7EE
	v_perm_b32 v227, v239, v227, s55                           // 0000000090D0: D1ED00E3 00DFC7EF
	v_mfma_i32_16x16x32_i8 v[164:167], a[64:65], v[208:209], 0 // 0000000090D8: D3D700A4 0A03A140
	buffer_load_dwordx4 a[200:203], v40, s[24:27], 0 offen offset:2048// 0000000090E0: E05C1800 8086C828
	v_mfma_i32_16x16x32_i8 v[164:167], a[66:67], v[210:211], v[164:167]// 0000000090E8: D3D700A4 0E93A542
	ds_write_b32 v12, v224 offset:2048                         // 0000000090F0: D81A0800 0000E00C
	v_mfma_i32_16x16x32_i8 v[164:167], a[68:69], v[212:213], v[164:167]// 0000000090F8: D3D700A4 0E93A944
	s_add_u32 s20, s57, s20                                    // 000000009100: 80141439
	s_addc_u32 s21, 0, s21                                     // 000000009104: 82151580
	v_mfma_i32_16x16x32_i8 v[164:167], a[70:71], v[214:215], v[164:167]// 000000009108: D3D700A4 0E93AD46
	ds_write_b32 v12, v225 offset:6144                         // 000000009110: D81A1800 0000E10C
	v_mfma_i32_16x16x32_i8 v[164:167], a[72:73], v[216:217], v[164:167]// 000000009118: D3D700A4 0E93B148
	buffer_load_dwordx4 a[204:207], v40, s[24:27], 0 offen offset:3072// 000000009120: E05C1C00 8086CC28
	v_mfma_i32_16x16x32_i8 v[164:167], a[74:75], v[218:219], v[164:167]// 000000009128: D3D700A4 0E93B54A
	ds_write_b32 v12, v226 offset:3072                         // 000000009130: D81A0C00 0000E20C
	v_mfma_i32_16x16x32_i8 v[164:167], a[76:77], v[220:221], v[164:167]// 000000009138: D3D700A4 0E93B94C
	v_mfma_i32_16x16x32_i8 v[164:167], a[78:79], v[222:223], v[164:167]// 000000009140: D3D700A4 0E93BD4E
	ds_write_b32 v12, v227 offset:7168                         // 000000009148: D81A1C00 0000E30C
	v_mul_f32_e32 v240, v22, v240                              // 000000009150: 0BE1E116
	v_mul_f32_e32 v241, v22, v241                              // 000000009154: 0BE3E316
	v_mul_f32_e32 v242, v22, v242                              // 000000009158: 0BE5E516
	v_mul_f32_e32 v243, v22, v243                              // 00000000915C: 0BE7E716
	v_cvt_i32_f32_e32 v240, v240                               // 000000009160: 7FE011F0
	v_cvt_i32_f32_e32 v241, v241                               // 000000009164: 7FE211F1
	v_cvt_i32_f32_e32 v242, v242                               // 000000009168: 7FE411F2
	v_cvt_i32_f32_e32 v243, v243                               // 00000000916C: 7FE611F3
	v_perm_b32 v228, v241, v240, s53                           // 000000009170: D1ED00E4 00D7E1F1
	v_perm_b32 v228, v242, v228, s54                           // 000000009178: D1ED00E4 00DBC9F2
	v_perm_b32 v228, v243, v228, s55                           // 000000009180: D1ED00E4 00DFC9F3
	v_mul_f32_e32 v244, v23, v244                              // 000000009188: 0BE9E917
	v_mul_f32_e32 v245, v23, v245                              // 00000000918C: 0BEBEB17
	v_mul_f32_e32 v246, v23, v246                              // 000000009190: 0BEDED17
	v_mul_f32_e32 v247, v23, v247                              // 000000009194: 0BEFEF17
	v_cvt_i32_f32_e32 v244, v244                               // 000000009198: 7FE811F4
	v_cvt_i32_f32_e32 v245, v245                               // 00000000919C: 7FEA11F5
	v_cvt_i32_f32_e32 v246, v246                               // 0000000091A0: 7FEC11F6
	v_cvt_i32_f32_e32 v247, v247                               // 0000000091A4: 7FEE11F7
	v_perm_b32 v229, v245, v244, s53                           // 0000000091A8: D1ED00E5 00D7E9F5
	v_perm_b32 v229, v246, v229, s54                           // 0000000091B0: D1ED00E5 00DBCBF6
	v_perm_b32 v229, v247, v229, s55                           // 0000000091B8: D1ED00E5 00DFCBF7
	v_mfma_i32_16x16x32_i8 v[168:171], a[80:81], v[192:193], 0 // 0000000091C0: D3D700A8 0A038150
	buffer_load_dwordx4 a[208:211], v41, s[24:27], 0 offen     // 0000000091C8: E05C1000 8086D029
	v_mfma_i32_16x16x32_i8 v[168:171], a[82:83], v[194:195], v[168:171]// 0000000091D0: D3D700A8 0EA38552
	v_mfma_i32_16x16x32_i8 v[168:171], a[84:85], v[196:197], v[168:171]// 0000000091D8: D3D700A8 0EA38954
	v_mfma_i32_16x16x32_i8 v[168:171], a[86:87], v[198:199], v[168:171]// 0000000091E0: D3D700A8 0EA38D56
	v_mfma_i32_16x16x32_i8 v[168:171], a[88:89], v[200:201], v[168:171]// 0000000091E8: D3D700A8 0EA39158
	buffer_load_dwordx4 a[212:215], v41, s[24:27], 0 offen offset:1024// 0000000091F0: E05C1400 8086D429
	v_mfma_i32_16x16x32_i8 v[168:171], a[90:91], v[202:203], v[168:171]// 0000000091F8: D3D700A8 0EA3955A
	v_mfma_i32_16x16x32_i8 v[168:171], a[92:93], v[204:205], v[168:171]// 000000009200: D3D700A8 0EA3995C
	v_mfma_i32_16x16x32_i8 v[168:171], a[94:95], v[206:207], v[168:171]// 000000009208: D3D700A8 0EA39D5E
	v_mul_f32_e32 v248, v22, v248                              // 000000009210: 0BF1F116
	v_mul_f32_e32 v249, v22, v249                              // 000000009214: 0BF3F316
	v_mul_f32_e32 v250, v22, v250                              // 000000009218: 0BF5F516
	v_mul_f32_e32 v251, v22, v251                              // 00000000921C: 0BF7F716
	v_cvt_i32_f32_e32 v248, v248                               // 000000009220: 7FF011F8
	v_cvt_i32_f32_e32 v249, v249                               // 000000009224: 7FF211F9
	v_cvt_i32_f32_e32 v250, v250                               // 000000009228: 7FF411FA
	v_cvt_i32_f32_e32 v251, v251                               // 00000000922C: 7FF611FB
	v_perm_b32 v230, v249, v248, s53                           // 000000009230: D1ED00E6 00D7F1F9
	v_perm_b32 v230, v250, v230, s54                           // 000000009238: D1ED00E6 00DBCDFA
	v_perm_b32 v230, v251, v230, s55                           // 000000009240: D1ED00E6 00DFCDFB
	v_mul_f32_e32 v252, v23, v252                              // 000000009248: 0BF9F917
	v_mul_f32_e32 v253, v23, v253                              // 00000000924C: 0BFBFB17
	v_mul_f32_e32 v254, v23, v254                              // 000000009250: 0BFDFD17
	v_mul_f32_e32 v255, v23, v255                              // 000000009254: 0BFFFF17
	v_cvt_i32_f32_e32 v252, v252                               // 000000009258: 7FF811FC
	v_cvt_i32_f32_e32 v253, v253                               // 00000000925C: 7FFA11FD
	v_cvt_i32_f32_e32 v254, v254                               // 000000009260: 7FFC11FE
	v_cvt_i32_f32_e32 v255, v255                               // 000000009264: 7FFE11FF
	v_perm_b32 v231, v253, v252, s53                           // 000000009268: D1ED00E7 00D7F9FD
	v_perm_b32 v231, v254, v231, s54                           // 000000009270: D1ED00E7 00DBCFFE
	v_perm_b32 v231, v255, v231, s55                           // 000000009278: D1ED00E7 00DFCFFF
	v_mfma_i32_16x16x32_i8 v[172:175], a[80:81], v[208:209], 0 // 000000009280: D3D700AC 0A03A150
	buffer_load_dwordx4 a[216:219], v41, s[24:27], 0 offen offset:2048// 000000009288: E05C1800 8086D829
	v_mfma_i32_16x16x32_i8 v[172:175], a[82:83], v[210:211], v[172:175]// 000000009290: D3D700AC 0EB3A552
	ds_write_b32 v12, v228 offset:4096                         // 000000009298: D81A1000 0000E40C
	v_mfma_i32_16x16x32_i8 v[172:175], a[84:85], v[212:213], v[172:175]// 0000000092A0: D3D700AC 0EB3A954
	v_mfma_i32_16x16x32_i8 v[172:175], a[86:87], v[214:215], v[172:175]// 0000000092A8: D3D700AC 0EB3AD56
	ds_write_b32 v12, v229 offset:8192                         // 0000000092B0: D81A2000 0000E50C
	v_mfma_i32_16x16x32_i8 v[172:175], a[88:89], v[216:217], v[172:175]// 0000000092B8: D3D700AC 0EB3B158
	buffer_load_dwordx4 a[220:223], v41, s[24:27], 0 offen offset:3072// 0000000092C0: E05C1C00 8086DC29
	v_mfma_i32_16x16x32_i8 v[172:175], a[90:91], v[218:219], v[172:175]// 0000000092C8: D3D700AC 0EB3B55A
	ds_write_b32 v12, v230 offset:5120                         // 0000000092D0: D81A1400 0000E60C
	v_mfma_i32_16x16x32_i8 v[172:175], a[92:93], v[220:221], v[172:175]// 0000000092D8: D3D700AC 0EB3B95C
	v_mfma_i32_16x16x32_i8 v[172:175], a[94:95], v[222:223], v[172:175]// 0000000092E0: D3D700AC 0EB3BD5E
	ds_write_b32 v12, v231 offset:9216                         // 0000000092E8: D81A2400 0000E70C
	v_cvt_f32_i32_e32 v144, v144                               // 0000000092F0: 7F200B90
	v_cvt_f32_i32_e32 v145, v145                               // 0000000092F4: 7F220B91
	v_cvt_f32_i32_e32 v146, v146                               // 0000000092F8: 7F240B92
	v_cvt_f32_i32_e32 v147, v147                               // 0000000092FC: 7F260B93
	v_cvt_f32_i32_e32 v148, v148                               // 000000009300: 7F280B94
	v_cvt_f32_i32_e32 v149, v149                               // 000000009304: 7F2A0B95
	v_cvt_f32_i32_e32 v150, v150                               // 000000009308: 7F2C0B96
	v_cvt_f32_i32_e32 v151, v151                               // 00000000930C: 7F2E0B97
	v_cvt_f32_i32_e32 v152, v152                               // 000000009310: 7F300B98
	v_cvt_f32_i32_e32 v153, v153                               // 000000009314: 7F320B99
	v_cvt_f32_i32_e32 v154, v154                               // 000000009318: 7F340B9A
	v_cvt_f32_i32_e32 v155, v155                               // 00000000931C: 7F360B9B
	v_cvt_f32_i32_e32 v156, v156                               // 000000009320: 7F380B9C
	v_cvt_f32_i32_e32 v157, v157                               // 000000009324: 7F3A0B9D
	v_cvt_f32_i32_e32 v158, v158                               // 000000009328: 7F3C0B9E
	v_cvt_f32_i32_e32 v159, v159                               // 00000000932C: 7F3E0B9F
	s_waitcnt lgkmcnt(0)                                       // 000000009330: BF8CC07F
	s_barrier                                                  // 000000009334: BF8A0000
	s_waitcnt vmcnt(40)                                        // 000000009338: BF8C8F78
	v_mfma_i32_16x16x32_i8 v[176:179], a[96:97], v[192:193], 0 // 00000000933C: D3D700B0 0A038160
	buffer_load_dwordx4 a[224:227], v42, s[24:27], 0 offen     // 000000009344: E05C1000 8086E02A
	v_mfma_i32_16x16x32_i8 v[176:179], a[98:99], v[194:195], v[176:179]// 00000000934C: D3D700B0 0EC38562
	ds_read_b64 v[224:225], v13 offset:2048                    // 000000009354: D8EC0800 E000000D
	ds_read_b64 v[226:227], v13 offset:2176                    // 00000000935C: D8EC0880 E200000D
	v_mfma_i32_16x16x32_i8 v[176:179], a[100:101], v[196:197], v[176:179]// 000000009364: D3D700B0 0EC38964
	v_mfma_i32_16x16x32_i8 v[176:179], a[102:103], v[198:199], v[176:179]// 00000000936C: D3D700B0 0EC38D66
	ds_read_b64 v[228:229], v13 offset:3072                    // 000000009374: D8EC0C00 E400000D
	ds_read_b64 v[230:231], v13 offset:3200                    // 00000000937C: D8EC0C80 E600000D
	v_mfma_i32_16x16x32_i8 v[176:179], a[104:105], v[200:201], v[176:179]// 000000009384: D3D700B0 0EC39168
	buffer_load_dwordx4 a[228:231], v42, s[24:27], 0 offen offset:1024// 00000000938C: E05C1400 8086E42A
	v_mfma_i32_16x16x32_i8 v[176:179], a[106:107], v[202:203], v[176:179]// 000000009394: D3D700B0 0EC3956A
	ds_read_b64 v[232:233], v13 offset:4096                    // 00000000939C: D8EC1000 E800000D
	ds_read_b64 v[234:235], v13 offset:4224                    // 0000000093A4: D8EC1080 EA00000D
	v_mfma_i32_16x16x32_i8 v[176:179], a[108:109], v[204:205], v[176:179]// 0000000093AC: D3D700B0 0EC3996C
	v_mfma_i32_16x16x32_i8 v[176:179], a[110:111], v[206:207], v[176:179]// 0000000093B4: D3D700B0 0EC39D6E
	ds_read_b64 v[236:237], v13 offset:5120                    // 0000000093BC: D8EC1400 EC00000D
	ds_read_b64 v[238:239], v13 offset:5248                    // 0000000093C4: D8EC1480 EE00000D
	v_cvt_f32_i32_e32 v160, v160                               // 0000000093CC: 7F400BA0
	v_cvt_f32_i32_e32 v161, v161                               // 0000000093D0: 7F420BA1
	v_cvt_f32_i32_e32 v162, v162                               // 0000000093D4: 7F440BA2
	v_cvt_f32_i32_e32 v163, v163                               // 0000000093D8: 7F460BA3
	v_cvt_f32_i32_e32 v164, v164                               // 0000000093DC: 7F480BA4
	v_cvt_f32_i32_e32 v165, v165                               // 0000000093E0: 7F4A0BA5
	v_cvt_f32_i32_e32 v166, v166                               // 0000000093E4: 7F4C0BA6
	v_cvt_f32_i32_e32 v167, v167                               // 0000000093E8: 7F4E0BA7
	v_pk_fma_f32 v[80:81], v[24:25], v[144:145], v[80:81]      // 0000000093EC: D3B04050 1D432118
	v_pk_fma_f32 v[82:83], v[24:25], v[146:147], v[82:83]      // 0000000093F4: D3B04052 1D4B2518
	v_pk_fma_f32 v[84:85], v[8:9], v[148:149], v[84:85]        // 0000000093FC: D3B04054 1D532908
	v_pk_fma_f32 v[86:87], v[8:9], v[150:151], v[86:87]        // 000000009404: D3B04056 1D5B2D08
	v_pk_fma_f32 v[88:89], v[24:25], v[152:153], v[88:89]      // 00000000940C: D3B04058 1D633118
	v_pk_fma_f32 v[90:91], v[24:25], v[154:155], v[90:91]      // 000000009414: D3B0405A 1D6B3518
	v_pk_fma_f32 v[92:93], v[8:9], v[156:157], v[92:93]        // 00000000941C: D3B0405C 1D733908
	v_pk_fma_f32 v[94:95], v[8:9], v[158:159], v[94:95]        // 000000009424: D3B0405E 1D7B3D08
	v_mfma_i32_16x16x32_i8 v[180:183], a[96:97], v[208:209], 0 // 00000000942C: D3D700B4 0A03A160
	buffer_load_dwordx4 a[232:235], v42, s[24:27], 0 offen offset:2048// 000000009434: E05C1800 8086E82A
	v_mfma_i32_16x16x32_i8 v[180:183], a[98:99], v[210:211], v[180:183]// 00000000943C: D3D700B4 0ED3A562
	ds_read_b64 v[240:241], v13 offset:6144                    // 000000009444: D8EC1800 F000000D
	ds_read_b64 v[242:243], v13 offset:6272                    // 00000000944C: D8EC1880 F200000D
	v_mfma_i32_16x16x32_i8 v[180:183], a[100:101], v[212:213], v[180:183]// 000000009454: D3D700B4 0ED3A964
	v_mfma_i32_16x16x32_i8 v[180:183], a[102:103], v[214:215], v[180:183]// 00000000945C: D3D700B4 0ED3AD66
	ds_read_b64 v[244:245], v13 offset:7168                    // 000000009464: D8EC1C00 F400000D
	ds_read_b64 v[246:247], v13 offset:7296                    // 00000000946C: D8EC1C80 F600000D
	v_mfma_i32_16x16x32_i8 v[180:183], a[104:105], v[216:217], v[180:183]// 000000009474: D3D700B4 0ED3B168
	buffer_load_dwordx4 a[236:239], v42, s[24:27], 0 offen offset:3072// 00000000947C: E05C1C00 8086EC2A
	v_mfma_i32_16x16x32_i8 v[180:183], a[106:107], v[218:219], v[180:183]// 000000009484: D3D700B4 0ED3B56A
	ds_read_b64 v[248:249], v13 offset:8192                    // 00000000948C: D8EC2000 F800000D
	ds_read_b64 v[250:251], v13 offset:8320                    // 000000009494: D8EC2080 FA00000D
	v_mfma_i32_16x16x32_i8 v[180:183], a[108:109], v[220:221], v[180:183]// 00000000949C: D3D700B4 0ED3B96C
	v_mfma_i32_16x16x32_i8 v[180:183], a[110:111], v[222:223], v[180:183]// 0000000094A4: D3D700B4 0ED3BD6E
	ds_read_b64 v[252:253], v13 offset:9216                    // 0000000094AC: D8EC2400 FC00000D
	ds_read_b64 v[254:255], v13 offset:9344                    // 0000000094B4: D8EC2480 FE00000D
	v_cvt_f32_i32_e32 v168, v168                               // 0000000094BC: 7F500BA8
	v_cvt_f32_i32_e32 v169, v169                               // 0000000094C0: 7F520BA9
	v_cvt_f32_i32_e32 v170, v170                               // 0000000094C4: 7F540BAA
	v_cvt_f32_i32_e32 v171, v171                               // 0000000094C8: 7F560BAB
	v_cvt_f32_i32_e32 v172, v172                               // 0000000094CC: 7F580BAC
	v_cvt_f32_i32_e32 v173, v173                               // 0000000094D0: 7F5A0BAD
	v_cvt_f32_i32_e32 v174, v174                               // 0000000094D4: 7F5C0BAE
	v_cvt_f32_i32_e32 v175, v175                               // 0000000094D8: 7F5E0BAF
	v_pk_fma_f32 v[96:97], v[24:25], v[160:161], v[96:97]      // 0000000094DC: D3B04060 1D834118
	v_pk_fma_f32 v[98:99], v[24:25], v[162:163], v[98:99]      // 0000000094E4: D3B04062 1D8B4518
	v_pk_fma_f32 v[100:101], v[8:9], v[164:165], v[100:101]    // 0000000094EC: D3B04064 1D934908
	v_pk_fma_f32 v[102:103], v[8:9], v[166:167], v[102:103]    // 0000000094F4: D3B04066 1D9B4D08
	v_pk_fma_f32 v[104:105], v[24:25], v[168:169], v[104:105]  // 0000000094FC: D3B04068 1DA35118
	v_pk_fma_f32 v[106:107], v[24:25], v[170:171], v[106:107]  // 000000009504: D3B0406A 1DAB5518
	v_pk_fma_f32 v[108:109], v[8:9], v[172:173], v[108:109]    // 00000000950C: D3B0406C 1DB35908
	v_pk_fma_f32 v[110:111], v[8:9], v[174:175], v[110:111]    // 000000009514: D3B0406E 1DBB5D08
	v_mfma_i32_16x16x32_i8 v[184:187], a[112:113], v[192:193], 0// 00000000951C: D3D700B8 0A038170
	buffer_load_dwordx4 a[240:243], v43, s[24:27], 0 offen     // 000000009524: E05C1000 8086F02B
	v_mfma_i32_16x16x32_i8 v[184:187], a[114:115], v[194:195], v[184:187]// 00000000952C: D3D700B8 0EE38572
	v_mfma_i32_16x16x32_i8 v[184:187], a[116:117], v[196:197], v[184:187]// 000000009534: D3D700B8 0EE38974
	v_mfma_i32_16x16x32_i8 v[184:187], a[118:119], v[198:199], v[184:187]// 00000000953C: D3D700B8 0EE38D76
	v_mfma_i32_16x16x32_i8 v[184:187], a[120:121], v[200:201], v[184:187]// 000000009544: D3D700B8 0EE39178
	buffer_load_dwordx4 a[244:247], v43, s[24:27], 0 offen offset:1024// 00000000954C: E05C1400 8086F42B
	v_mfma_i32_16x16x32_i8 v[184:187], a[122:123], v[202:203], v[184:187]// 000000009554: D3D700B8 0EE3957A
	v_mfma_i32_16x16x32_i8 v[184:187], a[124:125], v[204:205], v[184:187]// 00000000955C: D3D700B8 0EE3997C
	v_mfma_i32_16x16x32_i8 v[184:187], a[126:127], v[206:207], v[184:187]// 000000009564: D3D700B8 0EE39D7E
	v_mfma_i32_16x16x32_i8 v[188:191], a[112:113], v[208:209], 0// 00000000956C: D3D700BC 0A03A170
	buffer_load_dwordx4 a[248:251], v43, s[24:27], 0 offen offset:2048// 000000009574: E05C1800 8086F82B
	v_mfma_i32_16x16x32_i8 v[188:191], a[114:115], v[210:211], v[188:191]// 00000000957C: D3D700BC 0EF3A572
	v_mfma_i32_16x16x32_i8 v[188:191], a[116:117], v[212:213], v[188:191]// 000000009584: D3D700BC 0EF3A974
	v_mfma_i32_16x16x32_i8 v[188:191], a[118:119], v[214:215], v[188:191]// 00000000958C: D3D700BC 0EF3AD76
	v_mfma_i32_16x16x32_i8 v[188:191], a[120:121], v[216:217], v[188:191]// 000000009594: D3D700BC 0EF3B178
	buffer_load_dwordx4 a[252:255], v43, s[24:27], 0 offen offset:3072// 00000000959C: E05C1C00 8086FC2B
	v_mfma_i32_16x16x32_i8 v[188:191], a[122:123], v[218:219], v[188:191]// 0000000095A4: D3D700BC 0EF3B57A
	v_mfma_i32_16x16x32_i8 v[188:191], a[124:125], v[220:221], v[188:191]// 0000000095AC: D3D700BC 0EF3B97C
	s_add_u32 s24, s58, s24                                    // 0000000095B4: 8018183A
	s_addc_u32 s25, 0, s25                                     // 0000000095B8: 82191980
	s_add_u32 s28, s84, s28                                    // 0000000095BC: 801C1C54
	s_addc_u32 s29, 0, s29                                     // 0000000095C0: 821D1D80
	v_mfma_i32_16x16x32_i8 v[188:191], a[126:127], v[222:223], v[188:191]// 0000000095C4: D3D700BC 0EF3BD7E
	v_cvt_f32_i32_e32 v176, v176                               // 0000000095CC: 7F600BB0
	v_cvt_f32_i32_e32 v177, v177                               // 0000000095D0: 7F620BB1
	v_cvt_f32_i32_e32 v178, v178                               // 0000000095D4: 7F640BB2
	v_cvt_f32_i32_e32 v179, v179                               // 0000000095D8: 7F660BB3
	v_cvt_f32_i32_e32 v180, v180                               // 0000000095DC: 7F680BB4
	v_cvt_f32_i32_e32 v181, v181                               // 0000000095E0: 7F6A0BB5
	v_cvt_f32_i32_e32 v182, v182                               // 0000000095E4: 7F6C0BB6
	v_cvt_f32_i32_e32 v183, v183                               // 0000000095E8: 7F6E0BB7
	v_cvt_f32_i32_e32 v184, v184                               // 0000000095EC: 7F700BB8
	v_cvt_f32_i32_e32 v185, v185                               // 0000000095F0: 7F720BB9
	v_cvt_f32_i32_e32 v186, v186                               // 0000000095F4: 7F740BBA
	v_cvt_f32_i32_e32 v187, v187                               // 0000000095F8: 7F760BBB
	v_cvt_f32_i32_e32 v188, v188                               // 0000000095FC: 7F780BBC
	v_cvt_f32_i32_e32 v189, v189                               // 000000009600: 7F7A0BBD
	v_cvt_f32_i32_e32 v190, v190                               // 000000009604: 7F7C0BBE
	v_cvt_f32_i32_e32 v191, v191                               // 000000009608: 7F7E0BBF
	v_pk_fma_f32 v[112:113], v[24:25], v[176:177], v[112:113]  // 00000000960C: D3B04070 1DC36118
	v_pk_fma_f32 v[114:115], v[24:25], v[178:179], v[114:115]  // 000000009614: D3B04072 1DCB6518
	v_pk_fma_f32 v[116:117], v[8:9], v[180:181], v[116:117]    // 00000000961C: D3B04074 1DD36908
	v_pk_fma_f32 v[118:119], v[8:9], v[182:183], v[118:119]    // 000000009624: D3B04076 1DDB6D08
	v_pk_fma_f32 v[120:121], v[24:25], v[184:185], v[120:121]  // 00000000962C: D3B04078 1DE37118
	v_pk_fma_f32 v[122:123], v[24:25], v[186:187], v[122:123]  // 000000009634: D3B0407A 1DEB7518
	v_pk_fma_f32 v[124:125], v[8:9], v[188:189], v[124:125]    // 00000000963C: D3B0407C 1DF37908
	v_pk_fma_f32 v[126:127], v[8:9], v[190:191], v[126:127]    // 000000009644: D3B0407E 1DFB7D08
	s_addk_i32 s80, 0x100                                      // 00000000964C: B7500100
	s_cmp_lt_i32 s80, s81                                      // 000000009650: BF045150
	s_cbranch_scc0 label_1DBD                                  // 000000009654: BF8403A7
	s_waitcnt vmcnt(24) lgkmcnt(0)                             // 000000009658: BF8C4078
	s_barrier                                                  // 00000000965C: BF8A0000
	v_mfma_i32_16x16x32_i8 v[128:131], a[128:129], v[224:225], 0// 000000009660: D3D70080 0A03C180
	buffer_load_dwordx4 a[0:3], v36, s[24:27], 0 offen         // 000000009668: E05C1000 80860024
	v_mfma_i32_16x16x32_i8 v[128:131], a[130:131], v[226:227], v[128:131]// 000000009670: D3D70080 0E03C582
	ds_read_b64 v[192:193], v2 offset:18432                    // 000000009678: D8EC4800 C0000002
	ds_read_b64 v[196:197], v2 offset:26752                    // 000000009680: D8EC6880 C4000002
	v_mfma_i32_16x16x32_i8 v[128:131], a[132:133], v[228:229], v[128:131]// 000000009688: D3D70080 0E03C984
	buffer_load_dword v28, s[20:23], 0 offen lds               // 000000009690: E0511000 8005001C
	buffer_load_dword v28, s[20:23], 0 offen offset:256 lds    // 000000009698: E0511100 8005001C
	s_add_u32 m0, 0x820, s51                                   // 0000000096A0: 807C33FF 00000820
	buffer_load_dword v15, v6, s[28:31], 0 offen               // 0000000096A8: E0501000 80070F06
	v_mfma_i32_16x16x32_i8 v[128:131], a[134:135], v[230:231], v[128:131]// 0000000096B0: D3D70080 0E03CD86
	ds_read_b64 v[200:201], v2 offset:18560                    // 0000000096B8: D8EC4880 C8000002
	ds_read_b64 v[204:205], v2 offset:26880                    // 0000000096C0: D8EC6900 CC000002
	v_mfma_i32_16x16x32_i8 v[128:131], a[136:137], v[232:233], v[128:131]// 0000000096C8: D3D70080 0E03D188
	buffer_load_dwordx4 a[4:7], v36, s[24:27], 0 offen offset:1024// 0000000096D0: E05C1400 80860424
	v_mfma_i32_16x16x32_i8 v[128:131], a[138:139], v[234:235], v[128:131]// 0000000096D8: D3D70080 0E03D58A
	ds_read_b64 v[208:209], v2 offset:18688                    // 0000000096E0: D8EC4900 D0000002
	ds_read_b64 v[212:213], v2 offset:27008                    // 0000000096E8: D8EC6980 D4000002
	v_mfma_i32_16x16x32_i8 v[128:131], a[140:141], v[236:237], v[128:131]// 0000000096F0: D3D70080 0E03D98C
	buffer_load_dword v29, s[20:23], 0 offen lds               // 0000000096F8: E0511000 8005001D
	buffer_load_dword v29, s[20:23], 0 offen offset:256 lds    // 000000009700: E0511100 8005001D
	s_add_u32 m0, 0x1040, s51                                  // 000000009708: 807C33FF 00001040
	v_mfma_i32_16x16x32_i8 v[128:131], a[142:143], v[238:239], v[128:131]// 000000009710: D3D70080 0E03DD8E
	ds_read_b64 v[216:217], v2 offset:18816                    // 000000009718: D8EC4980 D8000002
	ds_read_b64 v[220:221], v2 offset:27136                    // 000000009720: D8EC6A00 DC000002
	s_waitcnt lgkmcnt(4)                                       // 000000009728: BF8CC47F
	v_and_b32_e32 v195, 0xffff0000, v193                       // 00000000972C: 278782FF FFFF0000
	v_lshlrev_b32_e32 v194, 16, v193                           // 000000009734: 25858290
	v_and_b32_e32 v193, 0xffff0000, v192                       // 000000009738: 278380FF FFFF0000
	v_lshlrev_b32_e32 v192, 16, v192                           // 000000009740: 25818090
	v_and_b32_e32 v199, 0xffff0000, v197                       // 000000009744: 278F8AFF FFFF0000
	v_lshlrev_b32_e32 v198, 16, v197                           // 00000000974C: 258D8A90
	v_and_b32_e32 v197, 0xffff0000, v196                       // 000000009750: 278B88FF FFFF0000
	v_lshlrev_b32_e32 v196, 16, v196                           // 000000009758: 25898890
	v_and_b32_e32 v203, 0xffff0000, v201                       // 00000000975C: 279792FF FFFF0000
	v_lshlrev_b32_e32 v202, 16, v201                           // 000000009764: 25959290
	v_and_b32_e32 v201, 0xffff0000, v200                       // 000000009768: 279390FF FFFF0000
	v_lshlrev_b32_e32 v200, 16, v200                           // 000000009770: 25919090
	v_and_b32_e32 v207, 0xffff0000, v205                       // 000000009774: 279F9AFF FFFF0000
	v_lshlrev_b32_e32 v206, 16, v205                           // 00000000977C: 259D9A90
	v_and_b32_e32 v205, 0xffff0000, v204                       // 000000009780: 279B98FF FFFF0000
	v_lshlrev_b32_e32 v204, 16, v204                           // 000000009788: 25999890
	v_mul_f32_dpp v192, v14, v192 row_newbcast:0 row_mask:0xf bank_mask:0xf// 00000000978C: 0B8180FA FF01500E
	v_mul_f32_dpp v193, v14, v193 row_newbcast:1 row_mask:0xf bank_mask:0xf// 000000009794: 0B8382FA FF01510E
	v_mul_f32_dpp v194, v14, v194 row_newbcast:2 row_mask:0xf bank_mask:0xf// 00000000979C: 0B8584FA FF01520E
	v_mul_f32_dpp v195, v14, v195 row_newbcast:3 row_mask:0xf bank_mask:0xf// 0000000097A4: 0B8786FA FF01530E
	v_mul_f32_dpp v196, v14, v196 row_newbcast:0 row_mask:0xf bank_mask:0xf// 0000000097AC: 0B8988FA FF01500E
	v_mul_f32_dpp v197, v14, v197 row_newbcast:1 row_mask:0xf bank_mask:0xf// 0000000097B4: 0B8B8AFA FF01510E
	v_mul_f32_dpp v198, v14, v198 row_newbcast:2 row_mask:0xf bank_mask:0xf// 0000000097BC: 0B8D8CFA FF01520E
	v_mul_f32_dpp v199, v14, v199 row_newbcast:3 row_mask:0xf bank_mask:0xf// 0000000097C4: 0B8F8EFA FF01530E
	v_mul_f32_dpp v200, v14, v200 row_newbcast:4 row_mask:0xf bank_mask:0xf// 0000000097CC: 0B9190FA FF01540E
	v_mul_f32_dpp v201, v14, v201 row_newbcast:5 row_mask:0xf bank_mask:0xf// 0000000097D4: 0B9392FA FF01550E
	v_mul_f32_dpp v202, v14, v202 row_newbcast:6 row_mask:0xf bank_mask:0xf// 0000000097DC: 0B9594FA FF01560E
	v_mul_f32_dpp v203, v14, v203 row_newbcast:7 row_mask:0xf bank_mask:0xf// 0000000097E4: 0B9796FA FF01570E
	v_mul_f32_dpp v204, v14, v204 row_newbcast:4 row_mask:0xf bank_mask:0xf// 0000000097EC: 0B9998FA FF01540E
	v_mul_f32_dpp v205, v14, v205 row_newbcast:5 row_mask:0xf bank_mask:0xf// 0000000097F4: 0B9B9AFA FF01550E
	v_mul_f32_dpp v206, v14, v206 row_newbcast:6 row_mask:0xf bank_mask:0xf// 0000000097FC: 0B9D9CFA FF01560E
	v_mul_f32_dpp v207, v14, v207 row_newbcast:7 row_mask:0xf bank_mask:0xf// 000000009804: 0B9F9EFA FF01570E
	v_mfma_i32_16x16x32_i8 v[132:135], a[128:129], v[240:241], 0// 00000000980C: D3D70084 0A03E180
	buffer_load_dwordx4 a[8:11], v36, s[24:27], 0 offen offset:2048// 000000009814: E05C1800 80860824
	v_mfma_i32_16x16x32_i8 v[132:135], a[130:131], v[242:243], v[132:135]// 00000000981C: D3D70084 0E13E582
	v_mfma_i32_16x16x32_i8 v[132:135], a[132:133], v[244:245], v[132:135]// 000000009824: D3D70084 0E13E984
	buffer_load_dword v30, s[20:23], 0 offen lds               // 00000000982C: E0511000 8005001E
	buffer_load_dword v30, s[20:23], 0 offen offset:256 lds    // 000000009834: E0511100 8005001E
	s_add_u32 m0, 0x1860, s51                                  // 00000000983C: 807C33FF 00001860
	v_mfma_i32_16x16x32_i8 v[132:135], a[134:135], v[246:247], v[132:135]// 000000009844: D3D70084 0E13ED86
	v_mfma_i32_16x16x32_i8 v[132:135], a[136:137], v[248:249], v[132:135]// 00000000984C: D3D70084 0E13F188
	buffer_load_dwordx4 a[12:15], v36, s[24:27], 0 offen offset:3072// 000000009854: E05C1C00 80860C24
	v_mfma_i32_16x16x32_i8 v[132:135], a[138:139], v[250:251], v[132:135]// 00000000985C: D3D70084 0E13F58A
	v_mfma_i32_16x16x32_i8 v[132:135], a[140:141], v[252:253], v[132:135]// 000000009864: D3D70084 0E13F98C
	buffer_load_dword v31, s[20:23], 0 offen lds               // 00000000986C: E0511000 8005001F
	buffer_load_dword v31, s[20:23], 0 offen offset:256 lds    // 000000009874: E0511100 8005001F
	s_add_u32 m0, 0x2080, s51                                  // 00000000987C: 807C33FF 00002080
	v_mfma_i32_16x16x32_i8 v[132:135], a[142:143], v[254:255], v[132:135]// 000000009884: D3D70084 0E13FD8E
	s_waitcnt lgkmcnt(0)                                       // 00000000988C: BF8CC07F
	v_and_b32_e32 v211, 0xffff0000, v209                       // 000000009890: 27A7A2FF FFFF0000
	v_lshlrev_b32_e32 v210, 16, v209                           // 000000009898: 25A5A290
	v_and_b32_e32 v209, 0xffff0000, v208                       // 00000000989C: 27A3A0FF FFFF0000
	v_lshlrev_b32_e32 v208, 16, v208                           // 0000000098A4: 25A1A090
	v_and_b32_e32 v215, 0xffff0000, v213                       // 0000000098A8: 27AFAAFF FFFF0000
	v_lshlrev_b32_e32 v214, 16, v213                           // 0000000098B0: 25ADAA90
	v_and_b32_e32 v213, 0xffff0000, v212                       // 0000000098B4: 27ABA8FF FFFF0000
	v_lshlrev_b32_e32 v212, 16, v212                           // 0000000098BC: 25A9A890
	v_and_b32_e32 v219, 0xffff0000, v217                       // 0000000098C0: 27B7B2FF FFFF0000
	v_lshlrev_b32_e32 v218, 16, v217                           // 0000000098C8: 25B5B290
	v_and_b32_e32 v217, 0xffff0000, v216                       // 0000000098CC: 27B3B0FF FFFF0000
	v_lshlrev_b32_e32 v216, 16, v216                           // 0000000098D4: 25B1B090
	v_and_b32_e32 v223, 0xffff0000, v221                       // 0000000098D8: 27BFBAFF FFFF0000
	v_lshlrev_b32_e32 v222, 16, v221                           // 0000000098E0: 25BDBA90
	v_and_b32_e32 v221, 0xffff0000, v220                       // 0000000098E4: 27BBB8FF FFFF0000
	v_lshlrev_b32_e32 v220, 16, v220                           // 0000000098EC: 25B9B890
	v_mul_f32_dpp v208, v14, v208 row_newbcast:8 row_mask:0xf bank_mask:0xf// 0000000098F0: 0BA1A0FA FF01580E
	v_mul_f32_dpp v209, v14, v209 row_newbcast:9 row_mask:0xf bank_mask:0xf// 0000000098F8: 0BA3A2FA FF01590E
	v_mul_f32_dpp v210, v14, v210 row_newbcast:10 row_mask:0xf bank_mask:0xf// 000000009900: 0BA5A4FA FF015A0E
	v_mul_f32_dpp v211, v14, v211 row_newbcast:11 row_mask:0xf bank_mask:0xf// 000000009908: 0BA7A6FA FF015B0E
	v_mul_f32_dpp v212, v14, v212 row_newbcast:8 row_mask:0xf bank_mask:0xf// 000000009910: 0BA9A8FA FF01580E
	v_mul_f32_dpp v213, v14, v213 row_newbcast:9 row_mask:0xf bank_mask:0xf// 000000009918: 0BABAAFA FF01590E
	v_mul_f32_dpp v214, v14, v214 row_newbcast:10 row_mask:0xf bank_mask:0xf// 000000009920: 0BADACFA FF015A0E
	v_mul_f32_dpp v215, v14, v215 row_newbcast:11 row_mask:0xf bank_mask:0xf// 000000009928: 0BAFAEFA FF015B0E
	v_mul_f32_dpp v216, v14, v216 row_newbcast:12 row_mask:0xf bank_mask:0xf// 000000009930: 0BB1B0FA FF015C0E
	v_mul_f32_dpp v217, v14, v217 row_newbcast:13 row_mask:0xf bank_mask:0xf// 000000009938: 0BB3B2FA FF015D0E
	v_mul_f32_dpp v218, v14, v218 row_newbcast:14 row_mask:0xf bank_mask:0xf// 000000009940: 0BB5B4FA FF015E0E
	v_mul_f32_dpp v219, v14, v219 row_newbcast:15 row_mask:0xf bank_mask:0xf// 000000009948: 0BB7B6FA FF015F0E
	v_mul_f32_dpp v220, v14, v220 row_newbcast:12 row_mask:0xf bank_mask:0xf// 000000009950: 0BB9B8FA FF015C0E
	v_mul_f32_dpp v221, v14, v221 row_newbcast:13 row_mask:0xf bank_mask:0xf// 000000009958: 0BBBBAFA FF015D0E
	v_mul_f32_dpp v222, v14, v222 row_newbcast:14 row_mask:0xf bank_mask:0xf// 000000009960: 0BBDBCFA FF015E0E
	v_mul_f32_dpp v223, v14, v223 row_newbcast:15 row_mask:0xf bank_mask:0xf// 000000009968: 0BBFBEFA FF015F0E
	v_mfma_i32_16x16x32_i8 v[136:139], a[144:145], v[224:225], 0// 000000009970: D3D70088 0A03C190
	buffer_load_dwordx4 a[16:19], v37, s[24:27], 0 offen       // 000000009978: E05C1000 80861025
	v_mfma_i32_16x16x32_i8 v[136:139], a[146:147], v[226:227], v[136:139]// 000000009980: D3D70088 0E23C592
	v_mfma_i32_16x16x32_i8 v[136:139], a[148:149], v[228:229], v[136:139]// 000000009988: D3D70088 0E23C994
	buffer_load_dword v32, s[20:23], 0 offen lds               // 000000009990: E0511000 80050020
	buffer_load_dword v32, s[20:23], 0 offen offset:256 lds    // 000000009998: E0511100 80050020
	s_add_u32 m0, 0x28a0, s51                                  // 0000000099A0: 807C33FF 000028A0
	v_mfma_i32_16x16x32_i8 v[136:139], a[150:151], v[230:231], v[136:139]// 0000000099A8: D3D70088 0E23CD96
	v_mfma_i32_16x16x32_i8 v[136:139], a[152:153], v[232:233], v[136:139]// 0000000099B0: D3D70088 0E23D198
	buffer_load_dwordx4 a[20:23], v37, s[24:27], 0 offen offset:1024// 0000000099B8: E05C1400 80861425
	v_mfma_i32_16x16x32_i8 v[136:139], a[154:155], v[234:235], v[136:139]// 0000000099C0: D3D70088 0E23D59A
	v_mfma_i32_16x16x32_i8 v[136:139], a[156:157], v[236:237], v[136:139]// 0000000099C8: D3D70088 0E23D99C
	buffer_load_dword v33, s[20:23], 0 offen lds               // 0000000099D0: E0511000 80050021
	buffer_load_dword v33, s[20:23], 0 offen offset:256 lds    // 0000000099D8: E0511100 80050021
	s_add_u32 m0, 0x30c0, s51                                  // 0000000099E0: 807C33FF 000030C0
	v_mfma_i32_16x16x32_i8 v[136:139], a[158:159], v[238:239], v[136:139]// 0000000099E8: D3D70088 0E23DD9E
	v_mov_b32_e32 v48, 0x358637bd                              // 0000000099F0: 7E6002FF 358637BD
	v_mov_b32_e32 v49, 0x358637bd                              // 0000000099F8: 7E6202FF 358637BD
	v_max3_f32 v48, |v192|, |v193|, v48                        // 000000009A00: D1D30330 04C383C0
	v_max3_f32 v48, |v194|, |v195|, v48                        // 000000009A08: D1D30330 04C387C2
	v_max3_f32 v49, |v196|, |v197|, v49                        // 000000009A10: D1D30331 04C78BC4
	v_max3_f32 v49, |v198|, |v199|, v49                        // 000000009A18: D1D30331 04C78FC6
	v_max3_f32 v48, |v200|, |v201|, v48                        // 000000009A20: D1D30330 04C393C8
	v_max3_f32 v48, |v202|, |v203|, v48                        // 000000009A28: D1D30330 04C397CA
	v_max3_f32 v49, |v204|, |v205|, v49                        // 000000009A30: D1D30331 04C79BCC
	v_max3_f32 v49, |v206|, |v207|, v49                        // 000000009A38: D1D30331 04C79FCE
	v_max3_f32 v48, |v208|, |v209|, v48                        // 000000009A40: D1D30330 04C3A3D0
	v_max3_f32 v48, |v210|, |v211|, v48                        // 000000009A48: D1D30330 04C3A7D2
	v_max3_f32 v49, |v212|, |v213|, v49                        // 000000009A50: D1D30331 04C7ABD4
	v_max3_f32 v49, |v214|, |v215|, v49                        // 000000009A58: D1D30331 04C7AFD6
	v_max3_f32 v48, |v216|, |v217|, v48                        // 000000009A60: D1D30330 04C3B3D8
	v_max3_f32 v48, |v218|, |v219|, v48                        // 000000009A68: D1D30330 04C3B7DA
	v_max3_f32 v49, |v220|, |v221|, v49                        // 000000009A70: D1D30331 04C7BBDC
	v_max3_f32 v49, |v222|, |v223|, v49                        // 000000009A78: D1D30331 04C7BFDE
	v_mfma_i32_16x16x32_i8 v[140:143], a[144:145], v[240:241], 0// 000000009A80: D3D7008C 0A03E190
	buffer_load_dwordx4 a[24:27], v37, s[24:27], 0 offen offset:2048// 000000009A88: E05C1800 80861825
	v_mfma_i32_16x16x32_i8 v[140:143], a[146:147], v[242:243], v[140:143]// 000000009A90: D3D7008C 0E33E592
	ds_write_b64 v3, v[48:49]                                  // 000000009A98: D89A0000 00003003
	v_mfma_i32_16x16x32_i8 v[140:143], a[148:149], v[244:245], v[140:143]// 000000009AA0: D3D7008C 0E33E994
	buffer_load_dword v34, s[20:23], 0 offen lds               // 000000009AA8: E0511000 80050022
	buffer_load_dword v34, s[20:23], 0 offen offset:256 lds    // 000000009AB0: E0511100 80050022
	s_add_u32 m0, 0x38e0, s51                                  // 000000009AB8: 807C33FF 000038E0
	v_mfma_i32_16x16x32_i8 v[140:143], a[150:151], v[246:247], v[140:143]// 000000009AC0: D3D7008C 0E33ED96
	v_mfma_i32_16x16x32_i8 v[140:143], a[152:153], v[248:249], v[140:143]// 000000009AC8: D3D7008C 0E33F198
	buffer_load_dwordx4 a[28:31], v37, s[24:27], 0 offen offset:3072// 000000009AD0: E05C1C00 80861C25
	v_mfma_i32_16x16x32_i8 v[140:143], a[154:155], v[250:251], v[140:143]// 000000009AD8: D3D7008C 0E33F59A
	v_mfma_i32_16x16x32_i8 v[140:143], a[156:157], v[252:253], v[140:143]// 000000009AE0: D3D7008C 0E33F99C
	buffer_load_dword v35, s[20:23], 0 offen lds               // 000000009AE8: E0511000 80050023
	buffer_load_dword v35, s[20:23], 0 offen offset:256 lds    // 000000009AF0: E0511100 80050023
	s_add_u32 m0, 0, s50                                       // 000000009AF8: 807C3280
	v_mfma_i32_16x16x32_i8 v[140:143], a[158:159], v[254:255], v[140:143]// 000000009AFC: D3D7008C 0E33FD9E
	s_waitcnt lgkmcnt(0)                                       // 000000009B04: BF8CC07F
	s_barrier                                                  // 000000009B08: BF8A0000
	v_cvt_f32_i32_e32 v128, v128                               // 000000009B0C: 7F000B80
	v_cvt_f32_i32_e32 v129, v129                               // 000000009B10: 7F020B81
	v_cvt_f32_i32_e32 v130, v130                               // 000000009B14: 7F040B82
	v_cvt_f32_i32_e32 v131, v131                               // 000000009B18: 7F060B83
	v_cvt_f32_i32_e32 v132, v132                               // 000000009B1C: 7F080B84
	v_cvt_f32_i32_e32 v133, v133                               // 000000009B20: 7F0A0B85
	v_cvt_f32_i32_e32 v134, v134                               // 000000009B24: 7F0C0B86
	v_cvt_f32_i32_e32 v135, v135                               // 000000009B28: 7F0E0B87
	v_cvt_f32_i32_e32 v136, v136                               // 000000009B2C: 7F100B88
	v_cvt_f32_i32_e32 v137, v137                               // 000000009B30: 7F120B89
	v_cvt_f32_i32_e32 v138, v138                               // 000000009B34: 7F140B8A
	v_cvt_f32_i32_e32 v139, v139                               // 000000009B38: 7F160B8B
	v_cvt_f32_i32_e32 v140, v140                               // 000000009B3C: 7F180B8C
	v_cvt_f32_i32_e32 v141, v141                               // 000000009B40: 7F1A0B8D
	v_cvt_f32_i32_e32 v142, v142                               // 000000009B44: 7F1C0B8E
	v_cvt_f32_i32_e32 v143, v143                               // 000000009B48: 7F1E0B8F
	s_waitcnt vmcnt(40)                                        // 000000009B4C: BF8C8F78
	v_mfma_i32_16x16x32_i8 v[144:147], a[160:161], v[224:225], 0// 000000009B50: D3D70090 0A03C1A0
	buffer_load_dwordx4 a[32:35], v38, s[24:27], 0 offen       // 000000009B58: E05C1000 80862026
	v_mfma_i32_16x16x32_i8 v[144:147], a[162:163], v[226:227], v[144:147]// 000000009B60: D3D70090 0E43C5A2
	ds_read_b64 v[48:49], v4                                   // 000000009B68: D8EC0000 30000004
	ds_read_b64 v[50:51], v4 offset:128                        // 000000009B70: D8EC0080 32000004
	v_mfma_i32_16x16x32_i8 v[144:147], a[164:165], v[228:229], v[144:147]// 000000009B78: D3D70090 0E43C9A4
	v_mfma_i32_16x16x32_i8 v[144:147], a[166:167], v[230:231], v[144:147]// 000000009B80: D3D70090 0E43CDA6
	ds_read_b64 v[52:53], v4 offset:256                        // 000000009B88: D8EC0100 34000004
	ds_read_b64 v[54:55], v4 offset:384                        // 000000009B90: D8EC0180 36000004
	v_mfma_i32_16x16x32_i8 v[144:147], a[168:169], v[232:233], v[144:147]// 000000009B98: D3D70090 0E43D1A8
	buffer_load_dwordx4 a[36:39], v38, s[24:27], 0 offen offset:1024// 000000009BA0: E05C1400 80862426
	v_mfma_i32_16x16x32_i8 v[144:147], a[170:171], v[234:235], v[144:147]// 000000009BA8: D3D70090 0E43D5AA
	ds_read_b64 v[56:57], v4 offset:512                        // 000000009BB0: D8EC0200 38000004
	ds_read_b64 v[58:59], v4 offset:640                        // 000000009BB8: D8EC0280 3A000004
	v_mfma_i32_16x16x32_i8 v[144:147], a[172:173], v[236:237], v[144:147]// 000000009BC0: D3D70090 0E43D9AC
	v_mfma_i32_16x16x32_i8 v[144:147], a[174:175], v[238:239], v[144:147]// 000000009BC8: D3D70090 0E43DDAE
	ds_read_b64 v[60:61], v4 offset:768                        // 000000009BD0: D8EC0300 3C000004
	ds_read_b64 v[62:63], v4 offset:896                        // 000000009BD8: D8EC0380 3E000004
	v_mov_b32_e32 v8, v27                                      // 000000009BE0: 7E10031B
	v_mov_b32_e32 v9, v27                                      // 000000009BE4: 7E12031B
	v_mov_b32_e32 v27, v26                                     // 000000009BE8: 7E36031A
	v_pk_fma_f32 v[64:65], v[26:27], v[128:129], v[64:65]      // 000000009BEC: D3B04040 1D03011A
	v_pk_fma_f32 v[66:67], v[26:27], v[130:131], v[66:67]      // 000000009BF4: D3B04042 1D0B051A
	v_pk_fma_f32 v[68:69], v[8:9], v[132:133], v[68:69]        // 000000009BFC: D3B04044 1D130908
	v_pk_fma_f32 v[70:71], v[8:9], v[134:135], v[70:71]        // 000000009C04: D3B04046 1D1B0D08
	v_pk_fma_f32 v[72:73], v[26:27], v[136:137], v[72:73]      // 000000009C0C: D3B04048 1D23111A
	v_pk_fma_f32 v[74:75], v[26:27], v[138:139], v[74:75]      // 000000009C14: D3B0404A 1D2B151A
	v_pk_fma_f32 v[76:77], v[8:9], v[140:141], v[76:77]        // 000000009C1C: D3B0404C 1D331908
	v_pk_fma_f32 v[78:79], v[8:9], v[142:143], v[78:79]        // 000000009C24: D3B0404E 1D3B1D08
	s_waitcnt lgkmcnt(0)                                       // 000000009C2C: BF8CC07F
	v_mov_b32_e32 v22, 0x358637bd                              // 000000009C30: 7E2C02FF 358637BD
	v_mov_b32_e32 v23, 0x358637bd                              // 000000009C38: 7E2E02FF 358637BD
	v_max3_f32 v22, |v48|, |v50|, v22                          // 000000009C40: D1D30316 045A6530
	v_max3_f32 v23, |v49|, |v51|, v23                          // 000000009C48: D1D30317 045E6731
	v_max3_f32 v22, |v52|, |v54|, v22                          // 000000009C50: D1D30316 045A6D34
	v_max3_f32 v23, |v53|, |v55|, v23                          // 000000009C58: D1D30317 045E6F35
	v_max3_f32 v22, |v56|, |v58|, v22                          // 000000009C60: D1D30316 045A7538
	v_max3_f32 v23, |v57|, |v59|, v23                          // 000000009C68: D1D30317 045E7739
	v_max3_f32 v22, |v60|, |v62|, v22                          // 000000009C70: D1D30316 045A7D3C
	v_max3_f32 v23, |v61|, |v63|, v23                          // 000000009C78: D1D30317 045E7F3D
	v_mfma_i32_16x16x32_i8 v[148:151], a[160:161], v[240:241], 0// 000000009C80: D3D70094 0A03E1A0
	buffer_load_dwordx4 a[40:43], v38, s[24:27], 0 offen offset:2048// 000000009C88: E05C1800 80862826
	v_mfma_i32_16x16x32_i8 v[148:151], a[162:163], v[242:243], v[148:151]// 000000009C90: D3D70094 0E53E5A2
	ds_read_b64 v[48:49], v4 offset:1024                       // 000000009C98: D8EC0400 30000004
	ds_read_b64 v[50:51], v4 offset:1152                       // 000000009CA0: D8EC0480 32000004
	v_mfma_i32_16x16x32_i8 v[148:151], a[164:165], v[244:245], v[148:151]// 000000009CA8: D3D70094 0E53E9A4
	v_mfma_i32_16x16x32_i8 v[148:151], a[166:167], v[246:247], v[148:151]// 000000009CB0: D3D70094 0E53EDA6
	ds_read_b64 v[52:53], v4 offset:1280                       // 000000009CB8: D8EC0500 34000004
	ds_read_b64 v[54:55], v4 offset:1408                       // 000000009CC0: D8EC0580 36000004
	v_mfma_i32_16x16x32_i8 v[148:151], a[168:169], v[248:249], v[148:151]// 000000009CC8: D3D70094 0E53F1A8
	buffer_load_dwordx4 a[44:47], v38, s[24:27], 0 offen offset:3072// 000000009CD0: E05C1C00 80862C26
	v_mfma_i32_16x16x32_i8 v[148:151], a[170:171], v[250:251], v[148:151]// 000000009CD8: D3D70094 0E53F5AA
	ds_read_b64 v[56:57], v4 offset:1536                       // 000000009CE0: D8EC0600 38000004
	ds_read_b64 v[58:59], v4 offset:1664                       // 000000009CE8: D8EC0680 3A000004
	v_mfma_i32_16x16x32_i8 v[148:151], a[172:173], v[252:253], v[148:151]// 000000009CF0: D3D70094 0E53F9AC
	v_mfma_i32_16x16x32_i8 v[148:151], a[174:175], v[254:255], v[148:151]// 000000009CF8: D3D70094 0E53FDAE
	ds_read_b64 v[60:61], v4 offset:1792                       // 000000009D00: D8EC0700 3C000004
	ds_read_b64 v[62:63], v4 offset:1920                       // 000000009D08: D8EC0780 3E000004
	v_mfma_i32_16x16x32_i8 v[152:155], a[176:177], v[224:225], 0// 000000009D10: D3D70098 0A03C1B0
	buffer_load_dwordx4 a[48:51], v39, s[24:27], 0 offen       // 000000009D18: E05C1000 80863027
	v_mfma_i32_16x16x32_i8 v[152:155], a[178:179], v[226:227], v[152:155]// 000000009D20: D3D70098 0E63C5B2
	v_mfma_i32_16x16x32_i8 v[152:155], a[180:181], v[228:229], v[152:155]// 000000009D28: D3D70098 0E63C9B4
	v_mfma_i32_16x16x32_i8 v[152:155], a[182:183], v[230:231], v[152:155]// 000000009D30: D3D70098 0E63CDB6
	v_mfma_i32_16x16x32_i8 v[152:155], a[184:185], v[232:233], v[152:155]// 000000009D38: D3D70098 0E63D1B8
	buffer_load_dwordx4 a[52:55], v39, s[24:27], 0 offen offset:1024// 000000009D40: E05C1400 80863427
	v_mfma_i32_16x16x32_i8 v[152:155], a[186:187], v[234:235], v[152:155]// 000000009D48: D3D70098 0E63D5BA
	v_mfma_i32_16x16x32_i8 v[152:155], a[188:189], v[236:237], v[152:155]// 000000009D50: D3D70098 0E63D9BC
	v_mfma_i32_16x16x32_i8 v[152:155], a[190:191], v[238:239], v[152:155]// 000000009D58: D3D70098 0E63DDBE
	s_waitcnt lgkmcnt(0)                                       // 000000009D60: BF8CC07F
	v_max3_f32 v22, |v48|, |v50|, v22                          // 000000009D64: D1D30316 045A6530
	v_max3_f32 v23, |v49|, |v51|, v23                          // 000000009D6C: D1D30317 045E6731
	v_max3_f32 v22, |v52|, |v54|, v22                          // 000000009D74: D1D30316 045A6D34
	v_max3_f32 v23, |v53|, |v55|, v23                          // 000000009D7C: D1D30317 045E6F35
	v_max3_f32 v22, |v56|, |v58|, v22                          // 000000009D84: D1D30316 045A7538
	v_max3_f32 v23, |v57|, |v59|, v23                          // 000000009D8C: D1D30317 045E7739
	v_max3_f32 v22, |v60|, |v62|, v22                          // 000000009D94: D1D30316 045A7D3C
	v_max3_f32 v23, |v61|, |v63|, v23                          // 000000009D9C: D1D30317 045E7F3D
	v_rcp_f32_e32 v22, v22                                     // 000000009DA4: 7E2C4516
	v_rcp_f32_e32 v23, v23                                     // 000000009DA8: 7E2E4517
	s_nop 1                                                    // 000000009DAC: BF800001
	v_mul_f32_e32 v22, 0x42fe0000, v22                         // 000000009DB0: 0A2C2CFF 42FE0000
	v_mul_f32_e32 v23, 0x42fe0000, v23                         // 000000009DB8: 0A2E2EFF 42FE0000
	v_rcp_f32_e32 v24, v22                                     // 000000009DC0: 7E304516
	v_rcp_f32_e32 v25, v23                                     // 000000009DC4: 7E324517
	v_mfma_i32_16x16x32_i8 v[156:159], a[176:177], v[240:241], 0// 000000009DC8: D3D7009C 0A03E1B0
	buffer_load_dwordx4 a[56:59], v39, s[24:27], 0 offen offset:2048// 000000009DD0: E05C1800 80863827
	v_mfma_i32_16x16x32_i8 v[156:159], a[178:179], v[242:243], v[156:159]// 000000009DD8: D3D7009C 0E73E5B2
	v_mfma_i32_16x16x32_i8 v[156:159], a[180:181], v[244:245], v[156:159]// 000000009DE0: D3D7009C 0E73E9B4
	v_mfma_i32_16x16x32_i8 v[156:159], a[182:183], v[246:247], v[156:159]// 000000009DE8: D3D7009C 0E73EDB6
	v_mfma_i32_16x16x32_i8 v[156:159], a[184:185], v[248:249], v[156:159]// 000000009DF0: D3D7009C 0E73F1B8
	buffer_load_dwordx4 a[60:63], v39, s[24:27], 0 offen offset:3072// 000000009DF8: E05C1C00 80863C27
	v_mfma_i32_16x16x32_i8 v[156:159], a[186:187], v[250:251], v[156:159]// 000000009E00: D3D7009C 0E73F5BA
	v_mfma_i32_16x16x32_i8 v[156:159], a[188:189], v[252:253], v[156:159]// 000000009E08: D3D7009C 0E73F9BC
	v_mfma_i32_16x16x32_i8 v[156:159], a[190:191], v[254:255], v[156:159]// 000000009E10: D3D7009C 0E73FDBE
	v_mul_f32_e32 v192, v22, v192                              // 000000009E18: 0B818116
	v_mul_f32_e32 v193, v22, v193                              // 000000009E1C: 0B838316
	v_mul_f32_e32 v194, v22, v194                              // 000000009E20: 0B858516
	v_mul_f32_e32 v195, v22, v195                              // 000000009E24: 0B878716
	v_cvt_i32_f32_e32 v192, v192                               // 000000009E28: 7F8011C0
	v_cvt_i32_f32_e32 v193, v193                               // 000000009E2C: 7F8211C1
	v_cvt_i32_f32_e32 v194, v194                               // 000000009E30: 7F8411C2
	v_cvt_i32_f32_e32 v195, v195                               // 000000009E34: 7F8611C3
	v_perm_b32 v192, v193, v192, s53                           // 000000009E38: D1ED00C0 00D781C1
	v_perm_b32 v192, v194, v192, s54                           // 000000009E40: D1ED00C0 00DB81C2
	v_perm_b32 v192, v195, v192, s55                           // 000000009E48: D1ED00C0 00DF81C3
	v_mul_f32_e32 v196, v23, v196                              // 000000009E50: 0B898917
	v_mul_f32_e32 v197, v23, v197                              // 000000009E54: 0B8B8B17
	v_mul_f32_e32 v198, v23, v198                              // 000000009E58: 0B8D8D17
	v_mul_f32_e32 v199, v23, v199                              // 000000009E5C: 0B8F8F17
	v_cvt_i32_f32_e32 v196, v196                               // 000000009E60: 7F8811C4
	v_cvt_i32_f32_e32 v197, v197                               // 000000009E64: 7F8A11C5
	v_cvt_i32_f32_e32 v198, v198                               // 000000009E68: 7F8C11C6
	v_cvt_i32_f32_e32 v199, v199                               // 000000009E6C: 7F8E11C7
	v_perm_b32 v193, v197, v196, s53                           // 000000009E70: D1ED00C1 00D789C5
	v_perm_b32 v193, v198, v193, s54                           // 000000009E78: D1ED00C1 00DB83C6
	v_perm_b32 v193, v199, v193, s55                           // 000000009E80: D1ED00C1 00DF83C7
	s_waitcnt vmcnt(40)                                        // 000000009E88: BF8C8F78
	v_mfma_i32_16x16x32_i8 v[160:163], a[192:193], v[224:225], 0// 000000009E8C: D3D700A0 0A03C1C0
	buffer_load_dwordx4 a[64:67], v40, s[24:27], 0 offen       // 000000009E94: E05C1000 80864028
	v_mfma_i32_16x16x32_i8 v[160:163], a[194:195], v[226:227], v[160:163]// 000000009E9C: D3D700A0 0E83C5C2
	v_mfma_i32_16x16x32_i8 v[160:163], a[196:197], v[228:229], v[160:163]// 000000009EA4: D3D700A0 0E83C9C4
	s_add_u32 s60, 0x300, s80                                  // 000000009EAC: 803C50FF 00000300
	s_cmp_lt_u32 s60, s81                                      // 000000009EB4: BF0A513C
	s_cselect_b32 s57, s57, 0                                  // 000000009EB8: 85398039
	s_cselect_b32 s84, s84, 0                                  // 000000009EBC: 85548054
	v_mfma_i32_16x16x32_i8 v[160:163], a[198:199], v[230:231], v[160:163]// 000000009EC0: D3D700A0 0E83CDC6
	v_mfma_i32_16x16x32_i8 v[160:163], a[200:201], v[232:233], v[160:163]// 000000009EC8: D3D700A0 0E83D1C8
	buffer_load_dwordx4 a[68:71], v40, s[24:27], 0 offen offset:1024// 000000009ED0: E05C1400 80864428
	v_mfma_i32_16x16x32_i8 v[160:163], a[202:203], v[234:235], v[160:163]// 000000009ED8: D3D700A0 0E83D5CA
	v_mfma_i32_16x16x32_i8 v[160:163], a[204:205], v[236:237], v[160:163]// 000000009EE0: D3D700A0 0E83D9CC
	s_add_u32 s60, 0x200, s80                                  // 000000009EE8: 803C50FF 00000200
	s_cmp_lt_u32 s60, s81                                      // 000000009EF0: BF0A513C
	s_cselect_b32 s58, s58, 0                                  // 000000009EF4: 853A803A
	v_mfma_i32_16x16x32_i8 v[160:163], a[206:207], v[238:239], v[160:163]// 000000009EF8: D3D700A0 0E83DDCE
	v_mul_f32_e32 v200, v22, v200                              // 000000009F00: 0B919116
	v_mul_f32_e32 v201, v22, v201                              // 000000009F04: 0B939316
	v_mul_f32_e32 v202, v22, v202                              // 000000009F08: 0B959516
	v_mul_f32_e32 v203, v22, v203                              // 000000009F0C: 0B979716
	v_cvt_i32_f32_e32 v200, v200                               // 000000009F10: 7F9011C8
	v_cvt_i32_f32_e32 v201, v201                               // 000000009F14: 7F9211C9
	v_cvt_i32_f32_e32 v202, v202                               // 000000009F18: 7F9411CA
	v_cvt_i32_f32_e32 v203, v203                               // 000000009F1C: 7F9611CB
	v_perm_b32 v194, v201, v200, s53                           // 000000009F20: D1ED00C2 00D791C9
	v_perm_b32 v194, v202, v194, s54                           // 000000009F28: D1ED00C2 00DB85CA
	v_perm_b32 v194, v203, v194, s55                           // 000000009F30: D1ED00C2 00DF85CB
	v_mul_f32_e32 v204, v23, v204                              // 000000009F38: 0B999917
	v_mul_f32_e32 v205, v23, v205                              // 000000009F3C: 0B9B9B17
	v_mul_f32_e32 v206, v23, v206                              // 000000009F40: 0B9D9D17
	v_mul_f32_e32 v207, v23, v207                              // 000000009F44: 0B9F9F17
	v_cvt_i32_f32_e32 v204, v204                               // 000000009F48: 7F9811CC
	v_cvt_i32_f32_e32 v205, v205                               // 000000009F4C: 7F9A11CD
	v_cvt_i32_f32_e32 v206, v206                               // 000000009F50: 7F9C11CE
	v_cvt_i32_f32_e32 v207, v207                               // 000000009F54: 7F9E11CF
	v_perm_b32 v195, v205, v204, s53                           // 000000009F58: D1ED00C3 00D799CD
	v_perm_b32 v195, v206, v195, s54                           // 000000009F60: D1ED00C3 00DB87CE
	v_perm_b32 v195, v207, v195, s55                           // 000000009F68: D1ED00C3 00DF87CF
	v_mfma_i32_16x16x32_i8 v[164:167], a[192:193], v[240:241], 0// 000000009F70: D3D700A4 0A03E1C0
	buffer_load_dwordx4 a[72:75], v40, s[24:27], 0 offen offset:2048// 000000009F78: E05C1800 80864828
	v_mfma_i32_16x16x32_i8 v[164:167], a[194:195], v[242:243], v[164:167]// 000000009F80: D3D700A4 0E93E5C2
	ds_write_b32 v12, v192 offset:2048                         // 000000009F88: D81A0800 0000C00C
	v_mfma_i32_16x16x32_i8 v[164:167], a[196:197], v[244:245], v[164:167]// 000000009F90: D3D700A4 0E93E9C4
	s_add_u32 s20, s57, s20                                    // 000000009F98: 80141439
	s_addc_u32 s21, 0, s21                                     // 000000009F9C: 82151580
	v_mfma_i32_16x16x32_i8 v[164:167], a[198:199], v[246:247], v[164:167]// 000000009FA0: D3D700A4 0E93EDC6
	ds_write_b32 v12, v193 offset:6144                         // 000000009FA8: D81A1800 0000C10C
	v_mfma_i32_16x16x32_i8 v[164:167], a[200:201], v[248:249], v[164:167]// 000000009FB0: D3D700A4 0E93F1C8
	buffer_load_dwordx4 a[76:79], v40, s[24:27], 0 offen offset:3072// 000000009FB8: E05C1C00 80864C28
	v_mfma_i32_16x16x32_i8 v[164:167], a[202:203], v[250:251], v[164:167]// 000000009FC0: D3D700A4 0E93F5CA
	ds_write_b32 v12, v194 offset:3072                         // 000000009FC8: D81A0C00 0000C20C
	v_mfma_i32_16x16x32_i8 v[164:167], a[204:205], v[252:253], v[164:167]// 000000009FD0: D3D700A4 0E93F9CC
	v_mfma_i32_16x16x32_i8 v[164:167], a[206:207], v[254:255], v[164:167]// 000000009FD8: D3D700A4 0E93FDCE
	ds_write_b32 v12, v195 offset:7168                         // 000000009FE0: D81A1C00 0000C30C
	v_mul_f32_e32 v208, v22, v208                              // 000000009FE8: 0BA1A116
	v_mul_f32_e32 v209, v22, v209                              // 000000009FEC: 0BA3A316
	v_mul_f32_e32 v210, v22, v210                              // 000000009FF0: 0BA5A516
	v_mul_f32_e32 v211, v22, v211                              // 000000009FF4: 0BA7A716
	v_cvt_i32_f32_e32 v208, v208                               // 000000009FF8: 7FA011D0
	v_cvt_i32_f32_e32 v209, v209                               // 000000009FFC: 7FA211D1
	v_cvt_i32_f32_e32 v210, v210                               // 00000000A000: 7FA411D2
	v_cvt_i32_f32_e32 v211, v211                               // 00000000A004: 7FA611D3
	v_perm_b32 v196, v209, v208, s53                           // 00000000A008: D1ED00C4 00D7A1D1
	v_perm_b32 v196, v210, v196, s54                           // 00000000A010: D1ED00C4 00DB89D2
	v_perm_b32 v196, v211, v196, s55                           // 00000000A018: D1ED00C4 00DF89D3
	v_mul_f32_e32 v212, v23, v212                              // 00000000A020: 0BA9A917
	v_mul_f32_e32 v213, v23, v213                              // 00000000A024: 0BABAB17
	v_mul_f32_e32 v214, v23, v214                              // 00000000A028: 0BADAD17
	v_mul_f32_e32 v215, v23, v215                              // 00000000A02C: 0BAFAF17
	v_cvt_i32_f32_e32 v212, v212                               // 00000000A030: 7FA811D4
	v_cvt_i32_f32_e32 v213, v213                               // 00000000A034: 7FAA11D5
	v_cvt_i32_f32_e32 v214, v214                               // 00000000A038: 7FAC11D6
	v_cvt_i32_f32_e32 v215, v215                               // 00000000A03C: 7FAE11D7
	v_perm_b32 v197, v213, v212, s53                           // 00000000A040: D1ED00C5 00D7A9D5
	v_perm_b32 v197, v214, v197, s54                           // 00000000A048: D1ED00C5 00DB8BD6
	v_perm_b32 v197, v215, v197, s55                           // 00000000A050: D1ED00C5 00DF8BD7
	v_mfma_i32_16x16x32_i8 v[168:171], a[208:209], v[224:225], 0// 00000000A058: D3D700A8 0A03C1D0
	buffer_load_dwordx4 a[80:83], v41, s[24:27], 0 offen       // 00000000A060: E05C1000 80865029
	v_mfma_i32_16x16x32_i8 v[168:171], a[210:211], v[226:227], v[168:171]// 00000000A068: D3D700A8 0EA3C5D2
	v_mfma_i32_16x16x32_i8 v[168:171], a[212:213], v[228:229], v[168:171]// 00000000A070: D3D700A8 0EA3C9D4
	v_mfma_i32_16x16x32_i8 v[168:171], a[214:215], v[230:231], v[168:171]// 00000000A078: D3D700A8 0EA3CDD6
	v_mfma_i32_16x16x32_i8 v[168:171], a[216:217], v[232:233], v[168:171]// 00000000A080: D3D700A8 0EA3D1D8
	buffer_load_dwordx4 a[84:87], v41, s[24:27], 0 offen offset:1024// 00000000A088: E05C1400 80865429
	v_mfma_i32_16x16x32_i8 v[168:171], a[218:219], v[234:235], v[168:171]// 00000000A090: D3D700A8 0EA3D5DA
	v_mfma_i32_16x16x32_i8 v[168:171], a[220:221], v[236:237], v[168:171]// 00000000A098: D3D700A8 0EA3D9DC
	v_mfma_i32_16x16x32_i8 v[168:171], a[222:223], v[238:239], v[168:171]// 00000000A0A0: D3D700A8 0EA3DDDE
	v_mul_f32_e32 v216, v22, v216                              // 00000000A0A8: 0BB1B116
	v_mul_f32_e32 v217, v22, v217                              // 00000000A0AC: 0BB3B316
	v_mul_f32_e32 v218, v22, v218                              // 00000000A0B0: 0BB5B516
	v_mul_f32_e32 v219, v22, v219                              // 00000000A0B4: 0BB7B716
	v_cvt_i32_f32_e32 v216, v216                               // 00000000A0B8: 7FB011D8
	v_cvt_i32_f32_e32 v217, v217                               // 00000000A0BC: 7FB211D9
	v_cvt_i32_f32_e32 v218, v218                               // 00000000A0C0: 7FB411DA
	v_cvt_i32_f32_e32 v219, v219                               // 00000000A0C4: 7FB611DB
	v_perm_b32 v198, v217, v216, s53                           // 00000000A0C8: D1ED00C6 00D7B1D9
	v_perm_b32 v198, v218, v198, s54                           // 00000000A0D0: D1ED00C6 00DB8DDA
	v_perm_b32 v198, v219, v198, s55                           // 00000000A0D8: D1ED00C6 00DF8DDB
	v_mul_f32_e32 v220, v23, v220                              // 00000000A0E0: 0BB9B917
	v_mul_f32_e32 v221, v23, v221                              // 00000000A0E4: 0BBBBB17
	v_mul_f32_e32 v222, v23, v222                              // 00000000A0E8: 0BBDBD17
	v_mul_f32_e32 v223, v23, v223                              // 00000000A0EC: 0BBFBF17
	v_cvt_i32_f32_e32 v220, v220                               // 00000000A0F0: 7FB811DC
	v_cvt_i32_f32_e32 v221, v221                               // 00000000A0F4: 7FBA11DD
	v_cvt_i32_f32_e32 v222, v222                               // 00000000A0F8: 7FBC11DE
	v_cvt_i32_f32_e32 v223, v223                               // 00000000A0FC: 7FBE11DF
	v_perm_b32 v199, v221, v220, s53                           // 00000000A100: D1ED00C7 00D7B9DD
	v_perm_b32 v199, v222, v199, s54                           // 00000000A108: D1ED00C7 00DB8FDE
	v_perm_b32 v199, v223, v199, s55                           // 00000000A110: D1ED00C7 00DF8FDF
	v_mfma_i32_16x16x32_i8 v[172:175], a[208:209], v[240:241], 0// 00000000A118: D3D700AC 0A03E1D0
	buffer_load_dwordx4 a[88:91], v41, s[24:27], 0 offen offset:2048// 00000000A120: E05C1800 80865829
	v_mfma_i32_16x16x32_i8 v[172:175], a[210:211], v[242:243], v[172:175]// 00000000A128: D3D700AC 0EB3E5D2
	ds_write_b32 v12, v196 offset:4096                         // 00000000A130: D81A1000 0000C40C
	v_mfma_i32_16x16x32_i8 v[172:175], a[212:213], v[244:245], v[172:175]// 00000000A138: D3D700AC 0EB3E9D4
	v_mfma_i32_16x16x32_i8 v[172:175], a[214:215], v[246:247], v[172:175]// 00000000A140: D3D700AC 0EB3EDD6
	ds_write_b32 v12, v197 offset:8192                         // 00000000A148: D81A2000 0000C50C
	v_mfma_i32_16x16x32_i8 v[172:175], a[216:217], v[248:249], v[172:175]// 00000000A150: D3D700AC 0EB3F1D8
	buffer_load_dwordx4 a[92:95], v41, s[24:27], 0 offen offset:3072// 00000000A158: E05C1C00 80865C29
	v_mfma_i32_16x16x32_i8 v[172:175], a[218:219], v[250:251], v[172:175]// 00000000A160: D3D700AC 0EB3F5DA
	ds_write_b32 v12, v198 offset:5120                         // 00000000A168: D81A1400 0000C60C
	v_mfma_i32_16x16x32_i8 v[172:175], a[220:221], v[252:253], v[172:175]// 00000000A170: D3D700AC 0EB3F9DC
	v_mfma_i32_16x16x32_i8 v[172:175], a[222:223], v[254:255], v[172:175]// 00000000A178: D3D700AC 0EB3FDDE
	ds_write_b32 v12, v199 offset:9216                         // 00000000A180: D81A2400 0000C70C
	v_cvt_f32_i32_e32 v144, v144                               // 00000000A188: 7F200B90
	v_cvt_f32_i32_e32 v145, v145                               // 00000000A18C: 7F220B91
	v_cvt_f32_i32_e32 v146, v146                               // 00000000A190: 7F240B92
	v_cvt_f32_i32_e32 v147, v147                               // 00000000A194: 7F260B93
	v_cvt_f32_i32_e32 v148, v148                               // 00000000A198: 7F280B94
	v_cvt_f32_i32_e32 v149, v149                               // 00000000A19C: 7F2A0B95
	v_cvt_f32_i32_e32 v150, v150                               // 00000000A1A0: 7F2C0B96
	v_cvt_f32_i32_e32 v151, v151                               // 00000000A1A4: 7F2E0B97
	v_cvt_f32_i32_e32 v152, v152                               // 00000000A1A8: 7F300B98
	v_cvt_f32_i32_e32 v153, v153                               // 00000000A1AC: 7F320B99
	v_cvt_f32_i32_e32 v154, v154                               // 00000000A1B0: 7F340B9A
	v_cvt_f32_i32_e32 v155, v155                               // 00000000A1B4: 7F360B9B
	v_cvt_f32_i32_e32 v156, v156                               // 00000000A1B8: 7F380B9C
	v_cvt_f32_i32_e32 v157, v157                               // 00000000A1BC: 7F3A0B9D
	v_cvt_f32_i32_e32 v158, v158                               // 00000000A1C0: 7F3C0B9E
	v_cvt_f32_i32_e32 v159, v159                               // 00000000A1C4: 7F3E0B9F
	s_waitcnt lgkmcnt(0)                                       // 00000000A1C8: BF8CC07F
	s_barrier                                                  // 00000000A1CC: BF8A0000
	s_waitcnt vmcnt(40)                                        // 00000000A1D0: BF8C8F78
	v_mfma_i32_16x16x32_i8 v[176:179], a[224:225], v[224:225], 0// 00000000A1D4: D3D700B0 0A03C1E0
	buffer_load_dwordx4 a[96:99], v42, s[24:27], 0 offen       // 00000000A1DC: E05C1000 8086602A
	v_mfma_i32_16x16x32_i8 v[176:179], a[226:227], v[226:227], v[176:179]// 00000000A1E4: D3D700B0 0EC3C5E2
	ds_read_b64 v[192:193], v13 offset:2048                    // 00000000A1EC: D8EC0800 C000000D
	ds_read_b64 v[194:195], v13 offset:2176                    // 00000000A1F4: D8EC0880 C200000D
	v_mfma_i32_16x16x32_i8 v[176:179], a[228:229], v[228:229], v[176:179]// 00000000A1FC: D3D700B0 0EC3C9E4
	v_mfma_i32_16x16x32_i8 v[176:179], a[230:231], v[230:231], v[176:179]// 00000000A204: D3D700B0 0EC3CDE6
	ds_read_b64 v[196:197], v13 offset:3072                    // 00000000A20C: D8EC0C00 C400000D
	ds_read_b64 v[198:199], v13 offset:3200                    // 00000000A214: D8EC0C80 C600000D
	v_mfma_i32_16x16x32_i8 v[176:179], a[232:233], v[232:233], v[176:179]// 00000000A21C: D3D700B0 0EC3D1E8
	buffer_load_dwordx4 a[100:103], v42, s[24:27], 0 offen offset:1024// 00000000A224: E05C1400 8086642A
	v_mfma_i32_16x16x32_i8 v[176:179], a[234:235], v[234:235], v[176:179]// 00000000A22C: D3D700B0 0EC3D5EA
	ds_read_b64 v[200:201], v13 offset:4096                    // 00000000A234: D8EC1000 C800000D
	ds_read_b64 v[202:203], v13 offset:4224                    // 00000000A23C: D8EC1080 CA00000D
	v_mfma_i32_16x16x32_i8 v[176:179], a[236:237], v[236:237], v[176:179]// 00000000A244: D3D700B0 0EC3D9EC
	v_mfma_i32_16x16x32_i8 v[176:179], a[238:239], v[238:239], v[176:179]// 00000000A24C: D3D700B0 0EC3DDEE
	ds_read_b64 v[204:205], v13 offset:5120                    // 00000000A254: D8EC1400 CC00000D
	ds_read_b64 v[206:207], v13 offset:5248                    // 00000000A25C: D8EC1480 CE00000D
	v_cvt_f32_i32_e32 v160, v160                               // 00000000A264: 7F400BA0
	v_cvt_f32_i32_e32 v161, v161                               // 00000000A268: 7F420BA1
	v_cvt_f32_i32_e32 v162, v162                               // 00000000A26C: 7F440BA2
	v_cvt_f32_i32_e32 v163, v163                               // 00000000A270: 7F460BA3
	v_cvt_f32_i32_e32 v164, v164                               // 00000000A274: 7F480BA4
	v_cvt_f32_i32_e32 v165, v165                               // 00000000A278: 7F4A0BA5
	v_cvt_f32_i32_e32 v166, v166                               // 00000000A27C: 7F4C0BA6
	v_cvt_f32_i32_e32 v167, v167                               // 00000000A280: 7F4E0BA7
	v_pk_fma_f32 v[80:81], v[26:27], v[144:145], v[80:81]      // 00000000A284: D3B04050 1D43211A
	v_pk_fma_f32 v[82:83], v[26:27], v[146:147], v[82:83]      // 00000000A28C: D3B04052 1D4B251A
	v_pk_fma_f32 v[84:85], v[8:9], v[148:149], v[84:85]        // 00000000A294: D3B04054 1D532908
	v_pk_fma_f32 v[86:87], v[8:9], v[150:151], v[86:87]        // 00000000A29C: D3B04056 1D5B2D08
	v_pk_fma_f32 v[88:89], v[26:27], v[152:153], v[88:89]      // 00000000A2A4: D3B04058 1D63311A
	v_pk_fma_f32 v[90:91], v[26:27], v[154:155], v[90:91]      // 00000000A2AC: D3B0405A 1D6B351A
	v_pk_fma_f32 v[92:93], v[8:9], v[156:157], v[92:93]        // 00000000A2B4: D3B0405C 1D733908
	v_pk_fma_f32 v[94:95], v[8:9], v[158:159], v[94:95]        // 00000000A2BC: D3B0405E 1D7B3D08
	v_mfma_i32_16x16x32_i8 v[180:183], a[224:225], v[240:241], 0// 00000000A2C4: D3D700B4 0A03E1E0
	buffer_load_dwordx4 a[104:107], v42, s[24:27], 0 offen offset:2048// 00000000A2CC: E05C1800 8086682A
	v_mfma_i32_16x16x32_i8 v[180:183], a[226:227], v[242:243], v[180:183]// 00000000A2D4: D3D700B4 0ED3E5E2
	ds_read_b64 v[208:209], v13 offset:6144                    // 00000000A2DC: D8EC1800 D000000D
	ds_read_b64 v[210:211], v13 offset:6272                    // 00000000A2E4: D8EC1880 D200000D
	v_mfma_i32_16x16x32_i8 v[180:183], a[228:229], v[244:245], v[180:183]// 00000000A2EC: D3D700B4 0ED3E9E4
	v_mfma_i32_16x16x32_i8 v[180:183], a[230:231], v[246:247], v[180:183]// 00000000A2F4: D3D700B4 0ED3EDE6
	ds_read_b64 v[212:213], v13 offset:7168                    // 00000000A2FC: D8EC1C00 D400000D
	ds_read_b64 v[214:215], v13 offset:7296                    // 00000000A304: D8EC1C80 D600000D
	v_mfma_i32_16x16x32_i8 v[180:183], a[232:233], v[248:249], v[180:183]// 00000000A30C: D3D700B4 0ED3F1E8
	buffer_load_dwordx4 a[108:111], v42, s[24:27], 0 offen offset:3072// 00000000A314: E05C1C00 80866C2A
	v_mfma_i32_16x16x32_i8 v[180:183], a[234:235], v[250:251], v[180:183]// 00000000A31C: D3D700B4 0ED3F5EA
	ds_read_b64 v[216:217], v13 offset:8192                    // 00000000A324: D8EC2000 D800000D
	ds_read_b64 v[218:219], v13 offset:8320                    // 00000000A32C: D8EC2080 DA00000D
	v_mfma_i32_16x16x32_i8 v[180:183], a[236:237], v[252:253], v[180:183]// 00000000A334: D3D700B4 0ED3F9EC
	v_mfma_i32_16x16x32_i8 v[180:183], a[238:239], v[254:255], v[180:183]// 00000000A33C: D3D700B4 0ED3FDEE
	ds_read_b64 v[220:221], v13 offset:9216                    // 00000000A344: D8EC2400 DC00000D
	ds_read_b64 v[222:223], v13 offset:9344                    // 00000000A34C: D8EC2480 DE00000D
	v_cvt_f32_i32_e32 v168, v168                               // 00000000A354: 7F500BA8
	v_cvt_f32_i32_e32 v169, v169                               // 00000000A358: 7F520BA9
	v_cvt_f32_i32_e32 v170, v170                               // 00000000A35C: 7F540BAA
	v_cvt_f32_i32_e32 v171, v171                               // 00000000A360: 7F560BAB
	v_cvt_f32_i32_e32 v172, v172                               // 00000000A364: 7F580BAC
	v_cvt_f32_i32_e32 v173, v173                               // 00000000A368: 7F5A0BAD
	v_cvt_f32_i32_e32 v174, v174                               // 00000000A36C: 7F5C0BAE
	v_cvt_f32_i32_e32 v175, v175                               // 00000000A370: 7F5E0BAF
	v_pk_fma_f32 v[96:97], v[26:27], v[160:161], v[96:97]      // 00000000A374: D3B04060 1D83411A
	v_pk_fma_f32 v[98:99], v[26:27], v[162:163], v[98:99]      // 00000000A37C: D3B04062 1D8B451A
	v_pk_fma_f32 v[100:101], v[8:9], v[164:165], v[100:101]    // 00000000A384: D3B04064 1D934908
	v_pk_fma_f32 v[102:103], v[8:9], v[166:167], v[102:103]    // 00000000A38C: D3B04066 1D9B4D08
	v_pk_fma_f32 v[104:105], v[26:27], v[168:169], v[104:105]  // 00000000A394: D3B04068 1DA3511A
	v_pk_fma_f32 v[106:107], v[26:27], v[170:171], v[106:107]  // 00000000A39C: D3B0406A 1DAB551A
	v_pk_fma_f32 v[108:109], v[8:9], v[172:173], v[108:109]    // 00000000A3A4: D3B0406C 1DB35908
	v_pk_fma_f32 v[110:111], v[8:9], v[174:175], v[110:111]    // 00000000A3AC: D3B0406E 1DBB5D08
	v_mfma_i32_16x16x32_i8 v[184:187], a[240:241], v[224:225], 0// 00000000A3B4: D3D700B8 0A03C1F0
	buffer_load_dwordx4 a[112:115], v43, s[24:27], 0 offen     // 00000000A3BC: E05C1000 8086702B
	v_mfma_i32_16x16x32_i8 v[184:187], a[242:243], v[226:227], v[184:187]// 00000000A3C4: D3D700B8 0EE3C5F2
	v_mfma_i32_16x16x32_i8 v[184:187], a[244:245], v[228:229], v[184:187]// 00000000A3CC: D3D700B8 0EE3C9F4
	v_mfma_i32_16x16x32_i8 v[184:187], a[246:247], v[230:231], v[184:187]// 00000000A3D4: D3D700B8 0EE3CDF6
	v_mfma_i32_16x16x32_i8 v[184:187], a[248:249], v[232:233], v[184:187]// 00000000A3DC: D3D700B8 0EE3D1F8
	buffer_load_dwordx4 a[116:119], v43, s[24:27], 0 offen offset:1024// 00000000A3E4: E05C1400 8086742B
	v_mfma_i32_16x16x32_i8 v[184:187], a[250:251], v[234:235], v[184:187]// 00000000A3EC: D3D700B8 0EE3D5FA
	v_mfma_i32_16x16x32_i8 v[184:187], a[252:253], v[236:237], v[184:187]// 00000000A3F4: D3D700B8 0EE3D9FC
	v_mfma_i32_16x16x32_i8 v[184:187], a[254:255], v[238:239], v[184:187]// 00000000A3FC: D3D700B8 0EE3DDFE
	v_mfma_i32_16x16x32_i8 v[188:191], a[240:241], v[240:241], 0// 00000000A404: D3D700BC 0A03E1F0
	buffer_load_dwordx4 a[120:123], v43, s[24:27], 0 offen offset:2048// 00000000A40C: E05C1800 8086782B
	v_mfma_i32_16x16x32_i8 v[188:191], a[242:243], v[242:243], v[188:191]// 00000000A414: D3D700BC 0EF3E5F2
	v_mfma_i32_16x16x32_i8 v[188:191], a[244:245], v[244:245], v[188:191]// 00000000A41C: D3D700BC 0EF3E9F4
	v_mfma_i32_16x16x32_i8 v[188:191], a[246:247], v[246:247], v[188:191]// 00000000A424: D3D700BC 0EF3EDF6
	v_mfma_i32_16x16x32_i8 v[188:191], a[248:249], v[248:249], v[188:191]// 00000000A42C: D3D700BC 0EF3F1F8
	buffer_load_dwordx4 a[124:127], v43, s[24:27], 0 offen offset:3072// 00000000A434: E05C1C00 80867C2B
	v_mfma_i32_16x16x32_i8 v[188:191], a[250:251], v[250:251], v[188:191]// 00000000A43C: D3D700BC 0EF3F5FA
	v_mfma_i32_16x16x32_i8 v[188:191], a[252:253], v[252:253], v[188:191]// 00000000A444: D3D700BC 0EF3F9FC
	s_add_u32 s24, s58, s24                                    // 00000000A44C: 8018183A
	s_addc_u32 s25, 0, s25                                     // 00000000A450: 82191980
	s_add_u32 s28, s84, s28                                    // 00000000A454: 801C1C54
	s_addc_u32 s29, 0, s29                                     // 00000000A458: 821D1D80
	v_mfma_i32_16x16x32_i8 v[188:191], a[254:255], v[254:255], v[188:191]// 00000000A45C: D3D700BC 0EF3FDFE
	v_cvt_f32_i32_e32 v176, v176                               // 00000000A464: 7F600BB0
	v_cvt_f32_i32_e32 v177, v177                               // 00000000A468: 7F620BB1
	v_cvt_f32_i32_e32 v178, v178                               // 00000000A46C: 7F640BB2
	v_cvt_f32_i32_e32 v179, v179                               // 00000000A470: 7F660BB3
	v_cvt_f32_i32_e32 v180, v180                               // 00000000A474: 7F680BB4
	v_cvt_f32_i32_e32 v181, v181                               // 00000000A478: 7F6A0BB5
	v_cvt_f32_i32_e32 v182, v182                               // 00000000A47C: 7F6C0BB6
	v_cvt_f32_i32_e32 v183, v183                               // 00000000A480: 7F6E0BB7
	v_cvt_f32_i32_e32 v184, v184                               // 00000000A484: 7F700BB8
	v_cvt_f32_i32_e32 v185, v185                               // 00000000A488: 7F720BB9
	v_cvt_f32_i32_e32 v186, v186                               // 00000000A48C: 7F740BBA
	v_cvt_f32_i32_e32 v187, v187                               // 00000000A490: 7F760BBB
	v_cvt_f32_i32_e32 v188, v188                               // 00000000A494: 7F780BBC
	v_cvt_f32_i32_e32 v189, v189                               // 00000000A498: 7F7A0BBD
	v_cvt_f32_i32_e32 v190, v190                               // 00000000A49C: 7F7C0BBE
	v_cvt_f32_i32_e32 v191, v191                               // 00000000A4A0: 7F7E0BBF
	v_pk_fma_f32 v[112:113], v[26:27], v[176:177], v[112:113]  // 00000000A4A4: D3B04070 1DC3611A
	v_pk_fma_f32 v[114:115], v[26:27], v[178:179], v[114:115]  // 00000000A4AC: D3B04072 1DCB651A
	v_pk_fma_f32 v[116:117], v[8:9], v[180:181], v[116:117]    // 00000000A4B4: D3B04074 1DD36908
	v_pk_fma_f32 v[118:119], v[8:9], v[182:183], v[118:119]    // 00000000A4BC: D3B04076 1DDB6D08
	v_pk_fma_f32 v[120:121], v[26:27], v[184:185], v[120:121]  // 00000000A4C4: D3B04078 1DE3711A
	v_pk_fma_f32 v[122:123], v[26:27], v[186:187], v[122:123]  // 00000000A4CC: D3B0407A 1DEB751A
	v_pk_fma_f32 v[124:125], v[8:9], v[188:189], v[124:125]    // 00000000A4D4: D3B0407C 1DF37908
	v_pk_fma_f32 v[126:127], v[8:9], v[190:191], v[126:127]    // 00000000A4DC: D3B0407E 1DFB7D08
	s_addk_i32 s80, 0x100                                      // 00000000A4E4: B7500100
	s_cmp_lt_i32 s80, s81                                      // 00000000A4E8: BF045150
	s_cbranch_scc0 label_1DBD                                  // 00000000A4EC: BF840001
	s_branch label_1670                                        // 00000000A4F0: BF82F8B3

000000000000a4f4 <label_1DBD>:
	s_mov_b32 s36, -1                                          // 00000000A4F4: BEA400C1
	s_mov_b32 s37, -1                                          // 00000000A4F8: BEA500C1
	s_mov_b64 s[60:61], 0                                      // 00000000A4FC: BEBC0180
	s_cmp_lt_u32 s86, s66                                      // 00000000A500: BF0A4256
	s_cselect_b64 s[20:21], s[36:37], s[60:61]                 // 00000000A504: 85943C24
	s_cmp_lt_u32 s87, s66                                      // 00000000A508: BF0A4257
	s_cselect_b64 s[22:23], s[36:37], s[60:61]                 // 00000000A50C: 85963C24
	s_cmp_lt_u32 s88, s66                                      // 00000000A510: BF0A4258
	s_cselect_b64 s[24:25], s[36:37], s[60:61]                 // 00000000A514: 85983C24
	s_cmp_lt_u32 s89, s66                                      // 00000000A518: BF0A4259
	s_cselect_b64 s[26:27], s[36:37], s[60:61]                 // 00000000A51C: 859A3C24
	s_cmp_lt_u32 s90, s66                                      // 00000000A520: BF0A425A
	s_cselect_b64 s[28:29], s[36:37], s[60:61]                 // 00000000A524: 859C3C24
	s_cmp_lt_u32 s91, s66                                      // 00000000A528: BF0A425B
	s_cselect_b64 s[30:31], s[36:37], s[60:61]                 // 00000000A52C: 859E3C24
	s_cmp_lt_u32 s92, s66                                      // 00000000A530: BF0A425C
	s_cselect_b64 s[32:33], s[36:37], s[60:61]                 // 00000000A534: 85A03C24
	s_cmp_lt_u32 s93, s66                                      // 00000000A538: BF0A425D
	s_cselect_b64 s[34:35], s[36:37], s[60:61]                 // 00000000A53C: 85A23C24
	v_mov_b32_e32 v60, 0xbfcc4231                              // 00000000A540: 7E7802FF BFCC4231
	v_mov_b32_e32 v61, 0xbfcc4231                              // 00000000A548: 7E7A02FF BFCC4231
	v_mov_b32_e32 v57, 0xffff0000                              // 00000000A550: 7E7202FF FFFF0000
	v_mov_b32_e32 v58, 0x7fff0000                              // 00000000A558: 7E7402FF 7FFF0000
	v_mov_b32_e32 v59, 0x7fff                                  // 00000000A560: 7E7602FF 00007FFF
	s_mul_i32 s60, s5, 16                                      // 00000000A568: 923C9005
	s_mul_i32 s60, s60, s70                                    // 00000000A56C: 923C463C
	v_lshlrev_b32_e32 v48, 4, v0                               // 00000000A570: 24600084
	v_add_u32_e32 v48, s60, v48                                // 00000000A574: 6860603C
	s_mul_i32 s60, 64, s70                                     // 00000000A578: 923C46C0
	v_add_u32_e32 v49, s60, v48                                // 00000000A57C: 6862603C
	v_add_u32_e32 v50, s60, v49                                // 00000000A580: 6864623C
	v_add_u32_e32 v51, s60, v50                                // 00000000A584: 6866643C
	v_lshrrev_b32_e32 v44, 4, v0                               // 00000000A588: 20580084
	v_mul_i32_i24_e32 v3, 34, v44                              // 00000000A58C: 0C0658A2
	v_and_b32_e32 v44, 15, v0                                  // 00000000A590: 2658008F
	v_mul_i32_i24_e32 v45, 2, v44                              // 00000000A594: 0C5A5882
	v_add_u32_e32 v3, v45, v3                                  // 00000000A598: 6806072D
	s_mul_i32 s60, s5, 0x88                                    // 00000000A59C: 923CFF05 00000088
	v_add_u32_e32 v3, s60, v3                                  // 00000000A5A4: 6806063C
	v_lshlrev_b32_e32 v3, 2, v3                                // 00000000A5A8: 24060682
	v_lshrrev_b32_e32 v44, 1, v0                               // 00000000A5AC: 20580081
	v_mul_i32_i24_e32 v4, 34, v44                              // 00000000A5B0: 0C0858A2
	v_and_b32_e32 v45, 1, v0                                   // 00000000A5B4: 265A0081
	v_add_u32_e32 v4, v45, v4                                  // 00000000A5B8: 6808092D
	s_mul_i32 s60, s5, 2                                       // 00000000A5BC: 923C8205
	v_add_u32_e32 v4, s60, v4                                  // 00000000A5C0: 6808083C
	v_lshlrev_b32_e32 v4, 2, v4                                // 00000000A5C4: 24080882
	v_mul_f32_dpp v128, v16, v64 row_newbcast:0 row_mask:0xf bank_mask:0xf// 00000000A5C8: 0B0080FA FF015010
	v_mul_f32_dpp v129, v16, v65 row_newbcast:1 row_mask:0xf bank_mask:0xf// 00000000A5D0: 0B0282FA FF015110
	v_mul_f32_dpp v130, v16, v66 row_newbcast:2 row_mask:0xf bank_mask:0xf// 00000000A5D8: 0B0484FA FF015210
	v_mul_f32_dpp v131, v16, v67 row_newbcast:3 row_mask:0xf bank_mask:0xf// 00000000A5E0: 0B0686FA FF015310
	v_mul_f32_dpp v132, v16, v68 row_newbcast:0 row_mask:0xf bank_mask:0xf// 00000000A5E8: 0B0888FA FF015010
	v_mul_f32_dpp v133, v16, v69 row_newbcast:1 row_mask:0xf bank_mask:0xf// 00000000A5F0: 0B0A8AFA FF015110
	v_mul_f32_dpp v134, v16, v70 row_newbcast:2 row_mask:0xf bank_mask:0xf// 00000000A5F8: 0B0C8CFA FF015210
	v_mul_f32_dpp v135, v16, v71 row_newbcast:3 row_mask:0xf bank_mask:0xf// 00000000A600: 0B0E8EFA FF015310
	v_mul_f32_dpp v136, v16, v72 row_newbcast:4 row_mask:0xf bank_mask:0xf// 00000000A608: 0B1090FA FF015410
	v_mul_f32_dpp v137, v16, v73 row_newbcast:5 row_mask:0xf bank_mask:0xf// 00000000A610: 0B1292FA FF015510
	v_mul_f32_dpp v138, v16, v74 row_newbcast:6 row_mask:0xf bank_mask:0xf// 00000000A618: 0B1494FA FF015610
	v_mul_f32_dpp v139, v16, v75 row_newbcast:7 row_mask:0xf bank_mask:0xf// 00000000A620: 0B1696FA FF015710
	v_mul_f32_dpp v140, v16, v76 row_newbcast:4 row_mask:0xf bank_mask:0xf// 00000000A628: 0B1898FA FF015410
	v_mul_f32_dpp v141, v16, v77 row_newbcast:5 row_mask:0xf bank_mask:0xf// 00000000A630: 0B1A9AFA FF015510
	v_mul_f32_dpp v142, v16, v78 row_newbcast:6 row_mask:0xf bank_mask:0xf// 00000000A638: 0B1C9CFA FF015610
	v_mul_f32_dpp v143, v16, v79 row_newbcast:7 row_mask:0xf bank_mask:0xf// 00000000A640: 0B1E9EFA FF015710
	v_mul_f32_dpp v144, v16, v80 row_newbcast:8 row_mask:0xf bank_mask:0xf// 00000000A648: 0B20A0FA FF015810
	v_mul_f32_dpp v145, v16, v81 row_newbcast:9 row_mask:0xf bank_mask:0xf// 00000000A650: 0B22A2FA FF015910
	v_mul_f32_dpp v146, v16, v82 row_newbcast:10 row_mask:0xf bank_mask:0xf// 00000000A658: 0B24A4FA FF015A10
	v_mul_f32_dpp v147, v16, v83 row_newbcast:11 row_mask:0xf bank_mask:0xf// 00000000A660: 0B26A6FA FF015B10
	v_mul_f32_dpp v148, v16, v84 row_newbcast:8 row_mask:0xf bank_mask:0xf// 00000000A668: 0B28A8FA FF015810
	v_mul_f32_dpp v149, v16, v85 row_newbcast:9 row_mask:0xf bank_mask:0xf// 00000000A670: 0B2AAAFA FF015910
	v_mul_f32_dpp v150, v16, v86 row_newbcast:10 row_mask:0xf bank_mask:0xf// 00000000A678: 0B2CACFA FF015A10
	v_mul_f32_dpp v151, v16, v87 row_newbcast:11 row_mask:0xf bank_mask:0xf// 00000000A680: 0B2EAEFA FF015B10
	v_mul_f32_dpp v152, v16, v88 row_newbcast:12 row_mask:0xf bank_mask:0xf// 00000000A688: 0B30B0FA FF015C10
	v_mul_f32_dpp v153, v16, v89 row_newbcast:13 row_mask:0xf bank_mask:0xf// 00000000A690: 0B32B2FA FF015D10
	v_mul_f32_dpp v154, v16, v90 row_newbcast:14 row_mask:0xf bank_mask:0xf// 00000000A698: 0B34B4FA FF015E10
	v_mul_f32_dpp v155, v16, v91 row_newbcast:15 row_mask:0xf bank_mask:0xf// 00000000A6A0: 0B36B6FA FF015F10
	v_mul_f32_dpp v156, v16, v92 row_newbcast:12 row_mask:0xf bank_mask:0xf// 00000000A6A8: 0B38B8FA FF015C10
	v_mul_f32_dpp v157, v16, v93 row_newbcast:13 row_mask:0xf bank_mask:0xf// 00000000A6B0: 0B3ABAFA FF015D10
	v_mul_f32_dpp v158, v16, v94 row_newbcast:14 row_mask:0xf bank_mask:0xf// 00000000A6B8: 0B3CBCFA FF015E10
	v_mul_f32_dpp v159, v16, v95 row_newbcast:15 row_mask:0xf bank_mask:0xf// 00000000A6C0: 0B3EBEFA FF015F10
	v_mul_f32_dpp v160, v17, v96 row_newbcast:0 row_mask:0xf bank_mask:0xf// 00000000A6C8: 0B40C0FA FF015011
	v_mul_f32_dpp v161, v17, v97 row_newbcast:1 row_mask:0xf bank_mask:0xf// 00000000A6D0: 0B42C2FA FF015111
	v_mul_f32_dpp v162, v17, v98 row_newbcast:2 row_mask:0xf bank_mask:0xf// 00000000A6D8: 0B44C4FA FF015211
	v_mul_f32_dpp v163, v17, v99 row_newbcast:3 row_mask:0xf bank_mask:0xf// 00000000A6E0: 0B46C6FA FF015311
	v_mul_f32_dpp v164, v17, v100 row_newbcast:0 row_mask:0xf bank_mask:0xf// 00000000A6E8: 0B48C8FA FF015011
	v_mul_f32_dpp v165, v17, v101 row_newbcast:1 row_mask:0xf bank_mask:0xf// 00000000A6F0: 0B4ACAFA FF015111
	v_mul_f32_dpp v166, v17, v102 row_newbcast:2 row_mask:0xf bank_mask:0xf// 00000000A6F8: 0B4CCCFA FF015211
	v_mul_f32_dpp v167, v17, v103 row_newbcast:3 row_mask:0xf bank_mask:0xf// 00000000A700: 0B4ECEFA FF015311
	v_mul_f32_dpp v168, v17, v104 row_newbcast:4 row_mask:0xf bank_mask:0xf// 00000000A708: 0B50D0FA FF015411
	v_mul_f32_dpp v169, v17, v105 row_newbcast:5 row_mask:0xf bank_mask:0xf// 00000000A710: 0B52D2FA FF015511
	v_mul_f32_dpp v170, v17, v106 row_newbcast:6 row_mask:0xf bank_mask:0xf// 00000000A718: 0B54D4FA FF015611
	v_mul_f32_dpp v171, v17, v107 row_newbcast:7 row_mask:0xf bank_mask:0xf// 00000000A720: 0B56D6FA FF015711
	v_mul_f32_dpp v172, v17, v108 row_newbcast:4 row_mask:0xf bank_mask:0xf// 00000000A728: 0B58D8FA FF015411
	v_mul_f32_dpp v173, v17, v109 row_newbcast:5 row_mask:0xf bank_mask:0xf// 00000000A730: 0B5ADAFA FF015511
	v_mul_f32_dpp v174, v17, v110 row_newbcast:6 row_mask:0xf bank_mask:0xf// 00000000A738: 0B5CDCFA FF015611
	v_mul_f32_dpp v175, v17, v111 row_newbcast:7 row_mask:0xf bank_mask:0xf// 00000000A740: 0B5EDEFA FF015711
	v_mul_f32_dpp v176, v17, v112 row_newbcast:8 row_mask:0xf bank_mask:0xf// 00000000A748: 0B60E0FA FF015811
	v_mul_f32_dpp v177, v17, v113 row_newbcast:9 row_mask:0xf bank_mask:0xf// 00000000A750: 0B62E2FA FF015911
	v_mul_f32_dpp v178, v17, v114 row_newbcast:10 row_mask:0xf bank_mask:0xf// 00000000A758: 0B64E4FA FF015A11
	v_mul_f32_dpp v179, v17, v115 row_newbcast:11 row_mask:0xf bank_mask:0xf// 00000000A760: 0B66E6FA FF015B11
	v_mul_f32_dpp v180, v17, v116 row_newbcast:8 row_mask:0xf bank_mask:0xf// 00000000A768: 0B68E8FA FF015811
	v_mul_f32_dpp v181, v17, v117 row_newbcast:9 row_mask:0xf bank_mask:0xf// 00000000A770: 0B6AEAFA FF015911
	v_mul_f32_dpp v182, v17, v118 row_newbcast:10 row_mask:0xf bank_mask:0xf// 00000000A778: 0B6CECFA FF015A11
	v_mul_f32_dpp v183, v17, v119 row_newbcast:11 row_mask:0xf bank_mask:0xf// 00000000A780: 0B6EEEFA FF015B11
	v_mul_f32_dpp v184, v17, v120 row_newbcast:12 row_mask:0xf bank_mask:0xf// 00000000A788: 0B70F0FA FF015C11
	v_mul_f32_dpp v185, v17, v121 row_newbcast:13 row_mask:0xf bank_mask:0xf// 00000000A790: 0B72F2FA FF015D11
	v_mul_f32_dpp v186, v17, v122 row_newbcast:14 row_mask:0xf bank_mask:0xf// 00000000A798: 0B74F4FA FF015E11
	v_mul_f32_dpp v187, v17, v123 row_newbcast:15 row_mask:0xf bank_mask:0xf// 00000000A7A0: 0B76F6FA FF015F11
	v_mul_f32_dpp v188, v17, v124 row_newbcast:12 row_mask:0xf bank_mask:0xf// 00000000A7A8: 0B78F8FA FF015C11
	v_mul_f32_dpp v189, v17, v125 row_newbcast:13 row_mask:0xf bank_mask:0xf// 00000000A7B0: 0B7AFAFA FF015D11
	v_mul_f32_dpp v190, v17, v126 row_newbcast:14 row_mask:0xf bank_mask:0xf// 00000000A7B8: 0B7CFCFA FF015E11
	v_mul_f32_dpp v191, v17, v127 row_newbcast:15 row_mask:0xf bank_mask:0xf// 00000000A7C0: 0B7EFEFA FF015F11
	s_waitcnt vmcnt(24)                                        // 00000000A7C8: BF8C4F78
	buffer_load_dwordx4 a[0:3], v48, s[12:15], 0 offen         // 00000000A7CC: E05C1000 80830030
	v_pk_mul_f32 v[44:45], v[128:129], v[128:129]              // 00000000A7D4: D3B1402C 18030180
	v_pk_mul_f32 v[46:47], v[130:131], v[130:131]              // 00000000A7DC: D3B1402E 18030582
	v_pk_fma_f32 v[44:45], v[44:45], s[82:83], v[60:61]        // 00000000A7E4: D3B0402C 1CF0A52C
	v_pk_fma_f32 v[46:47], v[46:47], s[82:83], v[60:61]        // 00000000A7EC: D3B0402E 1CF0A52E
	v_pk_mul_f32 v[44:45], v[44:45], v[128:129]                // 00000000A7F4: D3B1402C 1803012C
	v_pk_mul_f32 v[46:47], v[46:47], v[130:131]                // 00000000A7FC: D3B1402E 1803052E
	v_pk_mul_f32 v[44:45], v[44:45], s[6:7]                    // 00000000A804: D3B1402C 18000D2C
	v_pk_mul_f32 v[46:47], v[46:47], s[6:7]                    // 00000000A80C: D3B1402E 18000D2E
	v_exp_f32_e32 v44, v44                                     // 00000000A814: 7E58412C
	v_exp_f32_e32 v45, v45                                     // 00000000A818: 7E5A412D
	v_exp_f32_e32 v46, v46                                     // 00000000A81C: 7E5C412E
	v_exp_f32_e32 v47, v47                                     // 00000000A820: 7E5E412F
	buffer_load_dwordx4 a[4:7], v48, s[12:15], 0 offen offset:1024// 00000000A824: E05C1400 80830430
	v_add_f32_e64 v44, v44, 1.0                                // 00000000A82C: D101002C 0001E52C
	v_add_f32_e64 v45, v45, 1.0                                // 00000000A834: D101002D 0001E52D
	v_add_f32_e64 v46, v46, 1.0                                // 00000000A83C: D101002E 0001E52E
	v_add_f32_e64 v47, v47, 1.0                                // 00000000A844: D101002F 0001E52F
	v_rcp_f32_e32 v44, v44                                     // 00000000A84C: 7E58452C
	v_rcp_f32_e32 v45, v45                                     // 00000000A850: 7E5A452D
	v_rcp_f32_e32 v46, v46                                     // 00000000A854: 7E5C452E
	v_rcp_f32_e32 v47, v47                                     // 00000000A858: 7E5E452F
	v_pk_mul_f32 v[128:129], v[128:129], v[44:45]              // 00000000A85C: D3B14080 18025980
	v_pk_mul_f32 v[130:131], v[130:131], v[46:47]              // 00000000A864: D3B14082 18025D82
	buffer_load_dwordx4 a[8:11], v48, s[12:15], 0 offen offset:2048// 00000000A86C: E05C1800 80830830
	v_pk_mul_f32 v[44:45], v[132:133], v[132:133]              // 00000000A874: D3B1402C 18030984
	v_pk_mul_f32 v[46:47], v[134:135], v[134:135]              // 00000000A87C: D3B1402E 18030D86
	v_pk_fma_f32 v[44:45], v[44:45], s[82:83], v[60:61]        // 00000000A884: D3B0402C 1CF0A52C
	v_pk_fma_f32 v[46:47], v[46:47], s[82:83], v[60:61]        // 00000000A88C: D3B0402E 1CF0A52E
	v_pk_mul_f32 v[44:45], v[44:45], v[132:133]                // 00000000A894: D3B1402C 1803092C
	v_pk_mul_f32 v[46:47], v[46:47], v[134:135]                // 00000000A89C: D3B1402E 18030D2E
	v_pk_mul_f32 v[44:45], v[44:45], s[6:7]                    // 00000000A8A4: D3B1402C 18000D2C
	v_pk_mul_f32 v[46:47], v[46:47], s[6:7]                    // 00000000A8AC: D3B1402E 18000D2E
	v_exp_f32_e32 v44, v44                                     // 00000000A8B4: 7E58412C
	v_exp_f32_e32 v45, v45                                     // 00000000A8B8: 7E5A412D
	v_exp_f32_e32 v46, v46                                     // 00000000A8BC: 7E5C412E
	v_exp_f32_e32 v47, v47                                     // 00000000A8C0: 7E5E412F
	buffer_load_dwordx4 a[12:15], v48, s[12:15], 0 offen offset:3072// 00000000A8C4: E05C1C00 80830C30
	v_add_f32_e64 v44, v44, 1.0                                // 00000000A8CC: D101002C 0001E52C
	v_add_f32_e64 v45, v45, 1.0                                // 00000000A8D4: D101002D 0001E52D
	v_add_f32_e64 v46, v46, 1.0                                // 00000000A8DC: D101002E 0001E52E
	v_add_f32_e64 v47, v47, 1.0                                // 00000000A8E4: D101002F 0001E52F
	v_rcp_f32_e32 v44, v44                                     // 00000000A8EC: 7E58452C
	v_rcp_f32_e32 v45, v45                                     // 00000000A8F0: 7E5A452D
	v_rcp_f32_e32 v46, v46                                     // 00000000A8F4: 7E5C452E
	v_rcp_f32_e32 v47, v47                                     // 00000000A8F8: 7E5E452F
	v_pk_mul_f32 v[132:133], v[132:133], v[44:45]              // 00000000A8FC: D3B14084 18025984
	v_pk_mul_f32 v[134:135], v[134:135], v[46:47]              // 00000000A904: D3B14086 18025D86
	buffer_load_dwordx4 a[16:19], v49, s[12:15], 0 offen       // 00000000A90C: E05C1000 80831031
	v_pk_mul_f32 v[44:45], v[136:137], v[136:137]              // 00000000A914: D3B1402C 18031188
	v_pk_mul_f32 v[46:47], v[138:139], v[138:139]              // 00000000A91C: D3B1402E 1803158A
	v_pk_fma_f32 v[44:45], v[44:45], s[82:83], v[60:61]        // 00000000A924: D3B0402C 1CF0A52C
	v_pk_fma_f32 v[46:47], v[46:47], s[82:83], v[60:61]        // 00000000A92C: D3B0402E 1CF0A52E
	v_pk_mul_f32 v[44:45], v[44:45], v[136:137]                // 00000000A934: D3B1402C 1803112C
	v_pk_mul_f32 v[46:47], v[46:47], v[138:139]                // 00000000A93C: D3B1402E 1803152E
	v_pk_mul_f32 v[44:45], v[44:45], s[6:7]                    // 00000000A944: D3B1402C 18000D2C
	v_pk_mul_f32 v[46:47], v[46:47], s[6:7]                    // 00000000A94C: D3B1402E 18000D2E
	v_exp_f32_e32 v44, v44                                     // 00000000A954: 7E58412C
	v_exp_f32_e32 v45, v45                                     // 00000000A958: 7E5A412D
	v_exp_f32_e32 v46, v46                                     // 00000000A95C: 7E5C412E
	v_exp_f32_e32 v47, v47                                     // 00000000A960: 7E5E412F
	buffer_load_dwordx4 a[20:23], v49, s[12:15], 0 offen offset:1024// 00000000A964: E05C1400 80831431
	v_add_f32_e64 v44, v44, 1.0                                // 00000000A96C: D101002C 0001E52C
	v_add_f32_e64 v45, v45, 1.0                                // 00000000A974: D101002D 0001E52D
	v_add_f32_e64 v46, v46, 1.0                                // 00000000A97C: D101002E 0001E52E
	v_add_f32_e64 v47, v47, 1.0                                // 00000000A984: D101002F 0001E52F
	v_rcp_f32_e32 v44, v44                                     // 00000000A98C: 7E58452C
	v_rcp_f32_e32 v45, v45                                     // 00000000A990: 7E5A452D
	v_rcp_f32_e32 v46, v46                                     // 00000000A994: 7E5C452E
	v_rcp_f32_e32 v47, v47                                     // 00000000A998: 7E5E452F
	v_pk_mul_f32 v[136:137], v[136:137], v[44:45]              // 00000000A99C: D3B14088 18025988
	v_pk_mul_f32 v[138:139], v[138:139], v[46:47]              // 00000000A9A4: D3B1408A 18025D8A
	buffer_load_dwordx4 a[24:27], v49, s[12:15], 0 offen offset:2048// 00000000A9AC: E05C1800 80831831
	v_pk_mul_f32 v[44:45], v[140:141], v[140:141]              // 00000000A9B4: D3B1402C 1803198C
	v_pk_mul_f32 v[46:47], v[142:143], v[142:143]              // 00000000A9BC: D3B1402E 18031D8E
	v_pk_fma_f32 v[44:45], v[44:45], s[82:83], v[60:61]        // 00000000A9C4: D3B0402C 1CF0A52C
	v_pk_fma_f32 v[46:47], v[46:47], s[82:83], v[60:61]        // 00000000A9CC: D3B0402E 1CF0A52E
	v_pk_mul_f32 v[44:45], v[44:45], v[140:141]                // 00000000A9D4: D3B1402C 1803192C
	v_pk_mul_f32 v[46:47], v[46:47], v[142:143]                // 00000000A9DC: D3B1402E 18031D2E
	v_pk_mul_f32 v[44:45], v[44:45], s[6:7]                    // 00000000A9E4: D3B1402C 18000D2C
	v_pk_mul_f32 v[46:47], v[46:47], s[6:7]                    // 00000000A9EC: D3B1402E 18000D2E
	v_exp_f32_e32 v44, v44                                     // 00000000A9F4: 7E58412C
	v_exp_f32_e32 v45, v45                                     // 00000000A9F8: 7E5A412D
	v_exp_f32_e32 v46, v46                                     // 00000000A9FC: 7E5C412E
	v_exp_f32_e32 v47, v47                                     // 00000000AA00: 7E5E412F
	buffer_load_dwordx4 a[28:31], v49, s[12:15], 0 offen offset:3072// 00000000AA04: E05C1C00 80831C31
	v_add_f32_e64 v44, v44, 1.0                                // 00000000AA0C: D101002C 0001E52C
	v_add_f32_e64 v45, v45, 1.0                                // 00000000AA14: D101002D 0001E52D
	v_add_f32_e64 v46, v46, 1.0                                // 00000000AA1C: D101002E 0001E52E
	v_add_f32_e64 v47, v47, 1.0                                // 00000000AA24: D101002F 0001E52F
	v_rcp_f32_e32 v44, v44                                     // 00000000AA2C: 7E58452C
	v_rcp_f32_e32 v45, v45                                     // 00000000AA30: 7E5A452D
	v_rcp_f32_e32 v46, v46                                     // 00000000AA34: 7E5C452E
	v_rcp_f32_e32 v47, v47                                     // 00000000AA38: 7E5E452F
	v_pk_mul_f32 v[140:141], v[140:141], v[44:45]              // 00000000AA3C: D3B1408C 1802598C
	v_pk_mul_f32 v[142:143], v[142:143], v[46:47]              // 00000000AA44: D3B1408E 18025D8E
	s_waitcnt vmcnt(24)                                        // 00000000AA4C: BF8C4F78
	buffer_load_dwordx4 a[32:35], v50, s[12:15], 0 offen       // 00000000AA50: E05C1000 80832032
	v_pk_mul_f32 v[44:45], v[144:145], v[144:145]              // 00000000AA58: D3B1402C 18032190
	v_pk_mul_f32 v[46:47], v[146:147], v[146:147]              // 00000000AA60: D3B1402E 18032592
	v_pk_fma_f32 v[44:45], v[44:45], s[82:83], v[60:61]        // 00000000AA68: D3B0402C 1CF0A52C
	v_pk_fma_f32 v[46:47], v[46:47], s[82:83], v[60:61]        // 00000000AA70: D3B0402E 1CF0A52E
	v_pk_mul_f32 v[44:45], v[44:45], v[144:145]                // 00000000AA78: D3B1402C 1803212C
	v_pk_mul_f32 v[46:47], v[46:47], v[146:147]                // 00000000AA80: D3B1402E 1803252E
	v_pk_mul_f32 v[44:45], v[44:45], s[6:7]                    // 00000000AA88: D3B1402C 18000D2C
	v_pk_mul_f32 v[46:47], v[46:47], s[6:7]                    // 00000000AA90: D3B1402E 18000D2E
	v_exp_f32_e32 v44, v44                                     // 00000000AA98: 7E58412C
	v_exp_f32_e32 v45, v45                                     // 00000000AA9C: 7E5A412D
	v_exp_f32_e32 v46, v46                                     // 00000000AAA0: 7E5C412E
	v_exp_f32_e32 v47, v47                                     // 00000000AAA4: 7E5E412F
	buffer_load_dwordx4 a[36:39], v50, s[12:15], 0 offen offset:1024// 00000000AAA8: E05C1400 80832432
	v_add_f32_e64 v44, v44, 1.0                                // 00000000AAB0: D101002C 0001E52C
	v_add_f32_e64 v45, v45, 1.0                                // 00000000AAB8: D101002D 0001E52D
	v_add_f32_e64 v46, v46, 1.0                                // 00000000AAC0: D101002E 0001E52E
	v_add_f32_e64 v47, v47, 1.0                                // 00000000AAC8: D101002F 0001E52F
	v_rcp_f32_e32 v44, v44                                     // 00000000AAD0: 7E58452C
	v_rcp_f32_e32 v45, v45                                     // 00000000AAD4: 7E5A452D
	v_rcp_f32_e32 v46, v46                                     // 00000000AAD8: 7E5C452E
	v_rcp_f32_e32 v47, v47                                     // 00000000AADC: 7E5E452F
	v_pk_mul_f32 v[144:145], v[144:145], v[44:45]              // 00000000AAE0: D3B14090 18025990
	v_pk_mul_f32 v[146:147], v[146:147], v[46:47]              // 00000000AAE8: D3B14092 18025D92
	buffer_load_dwordx4 a[40:43], v50, s[12:15], 0 offen offset:2048// 00000000AAF0: E05C1800 80832832
	v_pk_mul_f32 v[44:45], v[148:149], v[148:149]              // 00000000AAF8: D3B1402C 18032994
	v_pk_mul_f32 v[46:47], v[150:151], v[150:151]              // 00000000AB00: D3B1402E 18032D96
	v_pk_fma_f32 v[44:45], v[44:45], s[82:83], v[60:61]        // 00000000AB08: D3B0402C 1CF0A52C
	v_pk_fma_f32 v[46:47], v[46:47], s[82:83], v[60:61]        // 00000000AB10: D3B0402E 1CF0A52E
	v_pk_mul_f32 v[44:45], v[44:45], v[148:149]                // 00000000AB18: D3B1402C 1803292C
	v_pk_mul_f32 v[46:47], v[46:47], v[150:151]                // 00000000AB20: D3B1402E 18032D2E
	v_pk_mul_f32 v[44:45], v[44:45], s[6:7]                    // 00000000AB28: D3B1402C 18000D2C
	v_pk_mul_f32 v[46:47], v[46:47], s[6:7]                    // 00000000AB30: D3B1402E 18000D2E
	v_exp_f32_e32 v44, v44                                     // 00000000AB38: 7E58412C
	v_exp_f32_e32 v45, v45                                     // 00000000AB3C: 7E5A412D
	v_exp_f32_e32 v46, v46                                     // 00000000AB40: 7E5C412E
	v_exp_f32_e32 v47, v47                                     // 00000000AB44: 7E5E412F
	buffer_load_dwordx4 a[44:47], v50, s[12:15], 0 offen offset:3072// 00000000AB48: E05C1C00 80832C32
	v_add_f32_e64 v44, v44, 1.0                                // 00000000AB50: D101002C 0001E52C
	v_add_f32_e64 v45, v45, 1.0                                // 00000000AB58: D101002D 0001E52D
	v_add_f32_e64 v46, v46, 1.0                                // 00000000AB60: D101002E 0001E52E
	v_add_f32_e64 v47, v47, 1.0                                // 00000000AB68: D101002F 0001E52F
	v_rcp_f32_e32 v44, v44                                     // 00000000AB70: 7E58452C
	v_rcp_f32_e32 v45, v45                                     // 00000000AB74: 7E5A452D
	v_rcp_f32_e32 v46, v46                                     // 00000000AB78: 7E5C452E
	v_rcp_f32_e32 v47, v47                                     // 00000000AB7C: 7E5E452F
	v_pk_mul_f32 v[148:149], v[148:149], v[44:45]              // 00000000AB80: D3B14094 18025994
	v_pk_mul_f32 v[150:151], v[150:151], v[46:47]              // 00000000AB88: D3B14096 18025D96
	buffer_load_dwordx4 a[48:51], v51, s[12:15], 0 offen       // 00000000AB90: E05C1000 80833033
	v_pk_mul_f32 v[44:45], v[152:153], v[152:153]              // 00000000AB98: D3B1402C 18033198
	v_pk_mul_f32 v[46:47], v[154:155], v[154:155]              // 00000000ABA0: D3B1402E 1803359A
	v_pk_fma_f32 v[44:45], v[44:45], s[82:83], v[60:61]        // 00000000ABA8: D3B0402C 1CF0A52C
	v_pk_fma_f32 v[46:47], v[46:47], s[82:83], v[60:61]        // 00000000ABB0: D3B0402E 1CF0A52E
	v_pk_mul_f32 v[44:45], v[44:45], v[152:153]                // 00000000ABB8: D3B1402C 1803312C
	v_pk_mul_f32 v[46:47], v[46:47], v[154:155]                // 00000000ABC0: D3B1402E 1803352E
	v_pk_mul_f32 v[44:45], v[44:45], s[6:7]                    // 00000000ABC8: D3B1402C 18000D2C
	v_pk_mul_f32 v[46:47], v[46:47], s[6:7]                    // 00000000ABD0: D3B1402E 18000D2E
	v_exp_f32_e32 v44, v44                                     // 00000000ABD8: 7E58412C
	v_exp_f32_e32 v45, v45                                     // 00000000ABDC: 7E5A412D
	v_exp_f32_e32 v46, v46                                     // 00000000ABE0: 7E5C412E
	v_exp_f32_e32 v47, v47                                     // 00000000ABE4: 7E5E412F
	buffer_load_dwordx4 a[52:55], v51, s[12:15], 0 offen offset:1024// 00000000ABE8: E05C1400 80833433
	v_add_f32_e64 v44, v44, 1.0                                // 00000000ABF0: D101002C 0001E52C
	v_add_f32_e64 v45, v45, 1.0                                // 00000000ABF8: D101002D 0001E52D
	v_add_f32_e64 v46, v46, 1.0                                // 00000000AC00: D101002E 0001E52E
	v_add_f32_e64 v47, v47, 1.0                                // 00000000AC08: D101002F 0001E52F
	v_rcp_f32_e32 v44, v44                                     // 00000000AC10: 7E58452C
	v_rcp_f32_e32 v45, v45                                     // 00000000AC14: 7E5A452D
	v_rcp_f32_e32 v46, v46                                     // 00000000AC18: 7E5C452E
	v_rcp_f32_e32 v47, v47                                     // 00000000AC1C: 7E5E452F
	v_pk_mul_f32 v[152:153], v[152:153], v[44:45]              // 00000000AC20: D3B14098 18025998
	v_pk_mul_f32 v[154:155], v[154:155], v[46:47]              // 00000000AC28: D3B1409A 18025D9A
	buffer_load_dwordx4 a[56:59], v51, s[12:15], 0 offen offset:2048// 00000000AC30: E05C1800 80833833
	v_pk_mul_f32 v[44:45], v[156:157], v[156:157]              // 00000000AC38: D3B1402C 1803399C
	v_pk_mul_f32 v[46:47], v[158:159], v[158:159]              // 00000000AC40: D3B1402E 18033D9E
	v_pk_fma_f32 v[44:45], v[44:45], s[82:83], v[60:61]        // 00000000AC48: D3B0402C 1CF0A52C
	v_pk_fma_f32 v[46:47], v[46:47], s[82:83], v[60:61]        // 00000000AC50: D3B0402E 1CF0A52E
	v_pk_mul_f32 v[44:45], v[44:45], v[156:157]                // 00000000AC58: D3B1402C 1803392C
	v_pk_mul_f32 v[46:47], v[46:47], v[158:159]                // 00000000AC60: D3B1402E 18033D2E
	v_pk_mul_f32 v[44:45], v[44:45], s[6:7]                    // 00000000AC68: D3B1402C 18000D2C
	v_pk_mul_f32 v[46:47], v[46:47], s[6:7]                    // 00000000AC70: D3B1402E 18000D2E
	v_exp_f32_e32 v44, v44                                     // 00000000AC78: 7E58412C
	v_exp_f32_e32 v45, v45                                     // 00000000AC7C: 7E5A412D
	v_exp_f32_e32 v46, v46                                     // 00000000AC80: 7E5C412E
	v_exp_f32_e32 v47, v47                                     // 00000000AC84: 7E5E412F
	buffer_load_dwordx4 a[60:63], v51, s[12:15], 0 offen offset:3072// 00000000AC88: E05C1C00 80833C33
	s_add_u32 s12, s78, s12                                    // 00000000AC90: 800C0C4E
	s_addc_u32 s13, 0, s13                                     // 00000000AC94: 820D0D80
	v_add_f32_e64 v44, v44, 1.0                                // 00000000AC98: D101002C 0001E52C
	v_add_f32_e64 v45, v45, 1.0                                // 00000000ACA0: D101002D 0001E52D
	v_add_f32_e64 v46, v46, 1.0                                // 00000000ACA8: D101002E 0001E52E
	v_add_f32_e64 v47, v47, 1.0                                // 00000000ACB0: D101002F 0001E52F
	v_rcp_f32_e32 v44, v44                                     // 00000000ACB8: 7E58452C
	v_rcp_f32_e32 v45, v45                                     // 00000000ACBC: 7E5A452D
	v_rcp_f32_e32 v46, v46                                     // 00000000ACC0: 7E5C452E
	v_rcp_f32_e32 v47, v47                                     // 00000000ACC4: 7E5E452F
	v_pk_mul_f32 v[156:157], v[156:157], v[44:45]              // 00000000ACC8: D3B1409C 1802599C
	v_pk_mul_f32 v[158:159], v[158:159], v[46:47]              // 00000000ACD0: D3B1409E 18025D9E
	s_waitcnt vmcnt(24)                                        // 00000000ACD8: BF8C4F78
	buffer_load_dwordx4 a[64:67], v48, s[12:15], 0 offen       // 00000000ACDC: E05C1000 80834030
	v_pk_mul_f32 v[44:45], v[160:161], v[160:161]              // 00000000ACE4: D3B1402C 180341A0
	v_pk_mul_f32 v[46:47], v[162:163], v[162:163]              // 00000000ACEC: D3B1402E 180345A2
	v_pk_fma_f32 v[44:45], v[44:45], s[82:83], v[60:61]        // 00000000ACF4: D3B0402C 1CF0A52C
	v_pk_fma_f32 v[46:47], v[46:47], s[82:83], v[60:61]        // 00000000ACFC: D3B0402E 1CF0A52E
	v_pk_mul_f32 v[44:45], v[44:45], v[160:161]                // 00000000AD04: D3B1402C 1803412C
	v_pk_mul_f32 v[46:47], v[46:47], v[162:163]                // 00000000AD0C: D3B1402E 1803452E
	v_pk_mul_f32 v[44:45], v[44:45], s[6:7]                    // 00000000AD14: D3B1402C 18000D2C
	v_pk_mul_f32 v[46:47], v[46:47], s[6:7]                    // 00000000AD1C: D3B1402E 18000D2E
	v_exp_f32_e32 v44, v44                                     // 00000000AD24: 7E58412C
	v_exp_f32_e32 v45, v45                                     // 00000000AD28: 7E5A412D
	v_exp_f32_e32 v46, v46                                     // 00000000AD2C: 7E5C412E
	v_exp_f32_e32 v47, v47                                     // 00000000AD30: 7E5E412F
	buffer_load_dwordx4 a[68:71], v48, s[12:15], 0 offen offset:1024// 00000000AD34: E05C1400 80834430
	v_add_f32_e64 v44, v44, 1.0                                // 00000000AD3C: D101002C 0001E52C
	v_add_f32_e64 v45, v45, 1.0                                // 00000000AD44: D101002D 0001E52D
	v_add_f32_e64 v46, v46, 1.0                                // 00000000AD4C: D101002E 0001E52E
	v_add_f32_e64 v47, v47, 1.0                                // 00000000AD54: D101002F 0001E52F
	v_rcp_f32_e32 v44, v44                                     // 00000000AD5C: 7E58452C
	v_rcp_f32_e32 v45, v45                                     // 00000000AD60: 7E5A452D
	v_rcp_f32_e32 v46, v46                                     // 00000000AD64: 7E5C452E
	v_rcp_f32_e32 v47, v47                                     // 00000000AD68: 7E5E452F
	v_pk_mul_f32 v[160:161], v[160:161], v[44:45]              // 00000000AD6C: D3B140A0 180259A0
	v_pk_mul_f32 v[162:163], v[162:163], v[46:47]              // 00000000AD74: D3B140A2 18025DA2
	buffer_load_dwordx4 a[72:75], v48, s[12:15], 0 offen offset:2048// 00000000AD7C: E05C1800 80834830
	v_pk_mul_f32 v[44:45], v[164:165], v[164:165]              // 00000000AD84: D3B1402C 180349A4
	v_pk_mul_f32 v[46:47], v[166:167], v[166:167]              // 00000000AD8C: D3B1402E 18034DA6
	v_pk_fma_f32 v[44:45], v[44:45], s[82:83], v[60:61]        // 00000000AD94: D3B0402C 1CF0A52C
	v_pk_fma_f32 v[46:47], v[46:47], s[82:83], v[60:61]        // 00000000AD9C: D3B0402E 1CF0A52E
	v_pk_mul_f32 v[44:45], v[44:45], v[164:165]                // 00000000ADA4: D3B1402C 1803492C
	v_pk_mul_f32 v[46:47], v[46:47], v[166:167]                // 00000000ADAC: D3B1402E 18034D2E
	v_pk_mul_f32 v[44:45], v[44:45], s[6:7]                    // 00000000ADB4: D3B1402C 18000D2C
	v_pk_mul_f32 v[46:47], v[46:47], s[6:7]                    // 00000000ADBC: D3B1402E 18000D2E
	v_exp_f32_e32 v44, v44                                     // 00000000ADC4: 7E58412C
	v_exp_f32_e32 v45, v45                                     // 00000000ADC8: 7E5A412D
	v_exp_f32_e32 v46, v46                                     // 00000000ADCC: 7E5C412E
	v_exp_f32_e32 v47, v47                                     // 00000000ADD0: 7E5E412F
	buffer_load_dwordx4 a[76:79], v48, s[12:15], 0 offen offset:3072// 00000000ADD4: E05C1C00 80834C30
	v_add_f32_e64 v44, v44, 1.0                                // 00000000ADDC: D101002C 0001E52C
	v_add_f32_e64 v45, v45, 1.0                                // 00000000ADE4: D101002D 0001E52D
	v_add_f32_e64 v46, v46, 1.0                                // 00000000ADEC: D101002E 0001E52E
	v_add_f32_e64 v47, v47, 1.0                                // 00000000ADF4: D101002F 0001E52F
	v_rcp_f32_e32 v44, v44                                     // 00000000ADFC: 7E58452C
	v_rcp_f32_e32 v45, v45                                     // 00000000AE00: 7E5A452D
	v_rcp_f32_e32 v46, v46                                     // 00000000AE04: 7E5C452E
	v_rcp_f32_e32 v47, v47                                     // 00000000AE08: 7E5E452F
	v_pk_mul_f32 v[164:165], v[164:165], v[44:45]              // 00000000AE0C: D3B140A4 180259A4
	v_pk_mul_f32 v[166:167], v[166:167], v[46:47]              // 00000000AE14: D3B140A6 18025DA6
	buffer_load_dwordx4 a[80:83], v49, s[12:15], 0 offen       // 00000000AE1C: E05C1000 80835031
	v_pk_mul_f32 v[44:45], v[168:169], v[168:169]              // 00000000AE24: D3B1402C 180351A8
	v_pk_mul_f32 v[46:47], v[170:171], v[170:171]              // 00000000AE2C: D3B1402E 180355AA
	v_pk_fma_f32 v[44:45], v[44:45], s[82:83], v[60:61]        // 00000000AE34: D3B0402C 1CF0A52C
	v_pk_fma_f32 v[46:47], v[46:47], s[82:83], v[60:61]        // 00000000AE3C: D3B0402E 1CF0A52E
	v_pk_mul_f32 v[44:45], v[44:45], v[168:169]                // 00000000AE44: D3B1402C 1803512C
	v_pk_mul_f32 v[46:47], v[46:47], v[170:171]                // 00000000AE4C: D3B1402E 1803552E
	v_pk_mul_f32 v[44:45], v[44:45], s[6:7]                    // 00000000AE54: D3B1402C 18000D2C
	v_pk_mul_f32 v[46:47], v[46:47], s[6:7]                    // 00000000AE5C: D3B1402E 18000D2E
	v_exp_f32_e32 v44, v44                                     // 00000000AE64: 7E58412C
	v_exp_f32_e32 v45, v45                                     // 00000000AE68: 7E5A412D
	v_exp_f32_e32 v46, v46                                     // 00000000AE6C: 7E5C412E
	v_exp_f32_e32 v47, v47                                     // 00000000AE70: 7E5E412F
	buffer_load_dwordx4 a[84:87], v49, s[12:15], 0 offen offset:1024// 00000000AE74: E05C1400 80835431
	v_add_f32_e64 v44, v44, 1.0                                // 00000000AE7C: D101002C 0001E52C
	v_add_f32_e64 v45, v45, 1.0                                // 00000000AE84: D101002D 0001E52D
	v_add_f32_e64 v46, v46, 1.0                                // 00000000AE8C: D101002E 0001E52E
	v_add_f32_e64 v47, v47, 1.0                                // 00000000AE94: D101002F 0001E52F
	v_rcp_f32_e32 v44, v44                                     // 00000000AE9C: 7E58452C
	v_rcp_f32_e32 v45, v45                                     // 00000000AEA0: 7E5A452D
	v_rcp_f32_e32 v46, v46                                     // 00000000AEA4: 7E5C452E
	v_rcp_f32_e32 v47, v47                                     // 00000000AEA8: 7E5E452F
	v_pk_mul_f32 v[168:169], v[168:169], v[44:45]              // 00000000AEAC: D3B140A8 180259A8
	v_pk_mul_f32 v[170:171], v[170:171], v[46:47]              // 00000000AEB4: D3B140AA 18025DAA
	buffer_load_dwordx4 a[88:91], v49, s[12:15], 0 offen offset:2048// 00000000AEBC: E05C1800 80835831
	v_pk_mul_f32 v[44:45], v[172:173], v[172:173]              // 00000000AEC4: D3B1402C 180359AC
	v_pk_mul_f32 v[46:47], v[174:175], v[174:175]              // 00000000AECC: D3B1402E 18035DAE
	v_pk_fma_f32 v[44:45], v[44:45], s[82:83], v[60:61]        // 00000000AED4: D3B0402C 1CF0A52C
	v_pk_fma_f32 v[46:47], v[46:47], s[82:83], v[60:61]        // 00000000AEDC: D3B0402E 1CF0A52E
	v_pk_mul_f32 v[44:45], v[44:45], v[172:173]                // 00000000AEE4: D3B1402C 1803592C
	v_pk_mul_f32 v[46:47], v[46:47], v[174:175]                // 00000000AEEC: D3B1402E 18035D2E
	v_pk_mul_f32 v[44:45], v[44:45], s[6:7]                    // 00000000AEF4: D3B1402C 18000D2C
	v_pk_mul_f32 v[46:47], v[46:47], s[6:7]                    // 00000000AEFC: D3B1402E 18000D2E
	v_exp_f32_e32 v44, v44                                     // 00000000AF04: 7E58412C
	v_exp_f32_e32 v45, v45                                     // 00000000AF08: 7E5A412D
	v_exp_f32_e32 v46, v46                                     // 00000000AF0C: 7E5C412E
	v_exp_f32_e32 v47, v47                                     // 00000000AF10: 7E5E412F
	buffer_load_dwordx4 a[92:95], v49, s[12:15], 0 offen offset:3072// 00000000AF14: E05C1C00 80835C31
	v_add_f32_e64 v44, v44, 1.0                                // 00000000AF1C: D101002C 0001E52C
	v_add_f32_e64 v45, v45, 1.0                                // 00000000AF24: D101002D 0001E52D
	v_add_f32_e64 v46, v46, 1.0                                // 00000000AF2C: D101002E 0001E52E
	v_add_f32_e64 v47, v47, 1.0                                // 00000000AF34: D101002F 0001E52F
	v_rcp_f32_e32 v44, v44                                     // 00000000AF3C: 7E58452C
	v_rcp_f32_e32 v45, v45                                     // 00000000AF40: 7E5A452D
	v_rcp_f32_e32 v46, v46                                     // 00000000AF44: 7E5C452E
	v_rcp_f32_e32 v47, v47                                     // 00000000AF48: 7E5E452F
	v_pk_mul_f32 v[172:173], v[172:173], v[44:45]              // 00000000AF4C: D3B140AC 180259AC
	v_pk_mul_f32 v[174:175], v[174:175], v[46:47]              // 00000000AF54: D3B140AE 18025DAE
	s_waitcnt vmcnt(24)                                        // 00000000AF5C: BF8C4F78
	buffer_load_dwordx4 a[96:99], v50, s[12:15], 0 offen       // 00000000AF60: E05C1000 80836032
	v_pk_mul_f32 v[44:45], v[176:177], v[176:177]              // 00000000AF68: D3B1402C 180361B0
	v_pk_mul_f32 v[46:47], v[178:179], v[178:179]              // 00000000AF70: D3B1402E 180365B2
	v_pk_fma_f32 v[44:45], v[44:45], s[82:83], v[60:61]        // 00000000AF78: D3B0402C 1CF0A52C
	v_pk_fma_f32 v[46:47], v[46:47], s[82:83], v[60:61]        // 00000000AF80: D3B0402E 1CF0A52E
	v_pk_mul_f32 v[44:45], v[44:45], v[176:177]                // 00000000AF88: D3B1402C 1803612C
	v_pk_mul_f32 v[46:47], v[46:47], v[178:179]                // 00000000AF90: D3B1402E 1803652E
	v_pk_mul_f32 v[44:45], v[44:45], s[6:7]                    // 00000000AF98: D3B1402C 18000D2C
	v_pk_mul_f32 v[46:47], v[46:47], s[6:7]                    // 00000000AFA0: D3B1402E 18000D2E
	v_exp_f32_e32 v44, v44                                     // 00000000AFA8: 7E58412C
	v_exp_f32_e32 v45, v45                                     // 00000000AFAC: 7E5A412D
	v_exp_f32_e32 v46, v46                                     // 00000000AFB0: 7E5C412E
	v_exp_f32_e32 v47, v47                                     // 00000000AFB4: 7E5E412F
	buffer_load_dwordx4 a[100:103], v50, s[12:15], 0 offen offset:1024// 00000000AFB8: E05C1400 80836432
	v_add_f32_e64 v44, v44, 1.0                                // 00000000AFC0: D101002C 0001E52C
	v_add_f32_e64 v45, v45, 1.0                                // 00000000AFC8: D101002D 0001E52D
	v_add_f32_e64 v46, v46, 1.0                                // 00000000AFD0: D101002E 0001E52E
	v_add_f32_e64 v47, v47, 1.0                                // 00000000AFD8: D101002F 0001E52F
	v_rcp_f32_e32 v44, v44                                     // 00000000AFE0: 7E58452C
	v_rcp_f32_e32 v45, v45                                     // 00000000AFE4: 7E5A452D
	v_rcp_f32_e32 v46, v46                                     // 00000000AFE8: 7E5C452E
	v_rcp_f32_e32 v47, v47                                     // 00000000AFEC: 7E5E452F
	v_pk_mul_f32 v[176:177], v[176:177], v[44:45]              // 00000000AFF0: D3B140B0 180259B0
	v_pk_mul_f32 v[178:179], v[178:179], v[46:47]              // 00000000AFF8: D3B140B2 18025DB2
	buffer_load_dwordx4 a[104:107], v50, s[12:15], 0 offen offset:2048// 00000000B000: E05C1800 80836832
	v_pk_mul_f32 v[44:45], v[180:181], v[180:181]              // 00000000B008: D3B1402C 180369B4
	v_pk_mul_f32 v[46:47], v[182:183], v[182:183]              // 00000000B010: D3B1402E 18036DB6
	v_pk_fma_f32 v[44:45], v[44:45], s[82:83], v[60:61]        // 00000000B018: D3B0402C 1CF0A52C
	v_pk_fma_f32 v[46:47], v[46:47], s[82:83], v[60:61]        // 00000000B020: D3B0402E 1CF0A52E
	v_pk_mul_f32 v[44:45], v[44:45], v[180:181]                // 00000000B028: D3B1402C 1803692C
	v_pk_mul_f32 v[46:47], v[46:47], v[182:183]                // 00000000B030: D3B1402E 18036D2E
	v_pk_mul_f32 v[44:45], v[44:45], s[6:7]                    // 00000000B038: D3B1402C 18000D2C
	v_pk_mul_f32 v[46:47], v[46:47], s[6:7]                    // 00000000B040: D3B1402E 18000D2E
	v_exp_f32_e32 v44, v44                                     // 00000000B048: 7E58412C
	v_exp_f32_e32 v45, v45                                     // 00000000B04C: 7E5A412D
	v_exp_f32_e32 v46, v46                                     // 00000000B050: 7E5C412E
	v_exp_f32_e32 v47, v47                                     // 00000000B054: 7E5E412F
	buffer_load_dwordx4 a[108:111], v50, s[12:15], 0 offen offset:3072// 00000000B058: E05C1C00 80836C32
	v_add_f32_e64 v44, v44, 1.0                                // 00000000B060: D101002C 0001E52C
	v_add_f32_e64 v45, v45, 1.0                                // 00000000B068: D101002D 0001E52D
	v_add_f32_e64 v46, v46, 1.0                                // 00000000B070: D101002E 0001E52E
	v_add_f32_e64 v47, v47, 1.0                                // 00000000B078: D101002F 0001E52F
	v_rcp_f32_e32 v44, v44                                     // 00000000B080: 7E58452C
	v_rcp_f32_e32 v45, v45                                     // 00000000B084: 7E5A452D
	v_rcp_f32_e32 v46, v46                                     // 00000000B088: 7E5C452E
	v_rcp_f32_e32 v47, v47                                     // 00000000B08C: 7E5E452F
	v_pk_mul_f32 v[180:181], v[180:181], v[44:45]              // 00000000B090: D3B140B4 180259B4
	v_pk_mul_f32 v[182:183], v[182:183], v[46:47]              // 00000000B098: D3B140B6 18025DB6
	buffer_load_dwordx4 a[112:115], v51, s[12:15], 0 offen     // 00000000B0A0: E05C1000 80837033
	v_pk_mul_f32 v[44:45], v[184:185], v[184:185]              // 00000000B0A8: D3B1402C 180371B8
	v_pk_mul_f32 v[46:47], v[186:187], v[186:187]              // 00000000B0B0: D3B1402E 180375BA
	v_pk_fma_f32 v[44:45], v[44:45], s[82:83], v[60:61]        // 00000000B0B8: D3B0402C 1CF0A52C
	v_pk_fma_f32 v[46:47], v[46:47], s[82:83], v[60:61]        // 00000000B0C0: D3B0402E 1CF0A52E
	v_pk_mul_f32 v[44:45], v[44:45], v[184:185]                // 00000000B0C8: D3B1402C 1803712C
	v_pk_mul_f32 v[46:47], v[46:47], v[186:187]                // 00000000B0D0: D3B1402E 1803752E
	v_pk_mul_f32 v[44:45], v[44:45], s[6:7]                    // 00000000B0D8: D3B1402C 18000D2C
	v_pk_mul_f32 v[46:47], v[46:47], s[6:7]                    // 00000000B0E0: D3B1402E 18000D2E
	v_exp_f32_e32 v44, v44                                     // 00000000B0E8: 7E58412C
	v_exp_f32_e32 v45, v45                                     // 00000000B0EC: 7E5A412D
	v_exp_f32_e32 v46, v46                                     // 00000000B0F0: 7E5C412E
	v_exp_f32_e32 v47, v47                                     // 00000000B0F4: 7E5E412F
	buffer_load_dwordx4 a[116:119], v51, s[12:15], 0 offen offset:1024// 00000000B0F8: E05C1400 80837433
	v_add_f32_e64 v44, v44, 1.0                                // 00000000B100: D101002C 0001E52C
	v_add_f32_e64 v45, v45, 1.0                                // 00000000B108: D101002D 0001E52D
	v_add_f32_e64 v46, v46, 1.0                                // 00000000B110: D101002E 0001E52E
	v_add_f32_e64 v47, v47, 1.0                                // 00000000B118: D101002F 0001E52F
	v_rcp_f32_e32 v44, v44                                     // 00000000B120: 7E58452C
	v_rcp_f32_e32 v45, v45                                     // 00000000B124: 7E5A452D
	v_rcp_f32_e32 v46, v46                                     // 00000000B128: 7E5C452E
	v_rcp_f32_e32 v47, v47                                     // 00000000B12C: 7E5E452F
	v_pk_mul_f32 v[184:185], v[184:185], v[44:45]              // 00000000B130: D3B140B8 180259B8
	v_pk_mul_f32 v[186:187], v[186:187], v[46:47]              // 00000000B138: D3B140BA 18025DBA
	buffer_load_dwordx4 a[120:123], v51, s[12:15], 0 offen offset:2048// 00000000B140: E05C1800 80837833
	v_pk_mul_f32 v[44:45], v[188:189], v[188:189]              // 00000000B148: D3B1402C 180379BC
	v_pk_mul_f32 v[46:47], v[190:191], v[190:191]              // 00000000B150: D3B1402E 18037DBE
	v_pk_fma_f32 v[44:45], v[44:45], s[82:83], v[60:61]        // 00000000B158: D3B0402C 1CF0A52C
	v_pk_fma_f32 v[46:47], v[46:47], s[82:83], v[60:61]        // 00000000B160: D3B0402E 1CF0A52E
	v_pk_mul_f32 v[44:45], v[44:45], v[188:189]                // 00000000B168: D3B1402C 1803792C
	v_pk_mul_f32 v[46:47], v[46:47], v[190:191]                // 00000000B170: D3B1402E 18037D2E
	v_pk_mul_f32 v[44:45], v[44:45], s[6:7]                    // 00000000B178: D3B1402C 18000D2C
	v_pk_mul_f32 v[46:47], v[46:47], s[6:7]                    // 00000000B180: D3B1402E 18000D2E
	v_exp_f32_e32 v44, v44                                     // 00000000B188: 7E58412C
	v_exp_f32_e32 v45, v45                                     // 00000000B18C: 7E5A412D
	v_exp_f32_e32 v46, v46                                     // 00000000B190: 7E5C412E
	v_exp_f32_e32 v47, v47                                     // 00000000B194: 7E5E412F
	buffer_load_dwordx4 a[124:127], v51, s[12:15], 0 offen offset:3072// 00000000B198: E05C1C00 80837C33
	v_add_f32_e64 v44, v44, 1.0                                // 00000000B1A0: D101002C 0001E52C
	v_add_f32_e64 v45, v45, 1.0                                // 00000000B1A8: D101002D 0001E52D
	v_add_f32_e64 v46, v46, 1.0                                // 00000000B1B0: D101002E 0001E52E
	v_add_f32_e64 v47, v47, 1.0                                // 00000000B1B8: D101002F 0001E52F
	v_rcp_f32_e32 v44, v44                                     // 00000000B1C0: 7E58452C
	v_rcp_f32_e32 v45, v45                                     // 00000000B1C4: 7E5A452D
	v_rcp_f32_e32 v46, v46                                     // 00000000B1C8: 7E5C452E
	v_rcp_f32_e32 v47, v47                                     // 00000000B1CC: 7E5E452F
	v_pk_mul_f32 v[188:189], v[188:189], v[44:45]              // 00000000B1D0: D3B140BC 180259BC
	v_pk_mul_f32 v[190:191], v[190:191], v[46:47]              // 00000000B1D8: D3B140BE 18025DBE
	v_mul_f32_dpp v128, v18, v128 row_newbcast:0 row_mask:0xf bank_mask:0xf// 00000000B1E0: 0B0100FA FF015012
	v_mul_f32_dpp v129, v18, v129 row_newbcast:1 row_mask:0xf bank_mask:0xf// 00000000B1E8: 0B0302FA FF015112
	v_mul_f32_dpp v130, v18, v130 row_newbcast:2 row_mask:0xf bank_mask:0xf// 00000000B1F0: 0B0504FA FF015212
	v_mul_f32_dpp v131, v18, v131 row_newbcast:3 row_mask:0xf bank_mask:0xf// 00000000B1F8: 0B0706FA FF015312
	v_mul_f32_dpp v132, v18, v132 row_newbcast:0 row_mask:0xf bank_mask:0xf// 00000000B200: 0B0908FA FF015012
	v_mul_f32_dpp v133, v18, v133 row_newbcast:1 row_mask:0xf bank_mask:0xf// 00000000B208: 0B0B0AFA FF015112
	v_mul_f32_dpp v134, v18, v134 row_newbcast:2 row_mask:0xf bank_mask:0xf// 00000000B210: 0B0D0CFA FF015212
	v_mul_f32_dpp v135, v18, v135 row_newbcast:3 row_mask:0xf bank_mask:0xf// 00000000B218: 0B0F0EFA FF015312
	v_mul_f32_dpp v136, v18, v136 row_newbcast:4 row_mask:0xf bank_mask:0xf// 00000000B220: 0B1110FA FF015412
	v_mul_f32_dpp v137, v18, v137 row_newbcast:5 row_mask:0xf bank_mask:0xf// 00000000B228: 0B1312FA FF015512
	v_mul_f32_dpp v138, v18, v138 row_newbcast:6 row_mask:0xf bank_mask:0xf// 00000000B230: 0B1514FA FF015612
	v_mul_f32_dpp v139, v18, v139 row_newbcast:7 row_mask:0xf bank_mask:0xf// 00000000B238: 0B1716FA FF015712
	v_mul_f32_dpp v140, v18, v140 row_newbcast:4 row_mask:0xf bank_mask:0xf// 00000000B240: 0B1918FA FF015412
	v_mul_f32_dpp v141, v18, v141 row_newbcast:5 row_mask:0xf bank_mask:0xf// 00000000B248: 0B1B1AFA FF015512
	v_mul_f32_dpp v142, v18, v142 row_newbcast:6 row_mask:0xf bank_mask:0xf// 00000000B250: 0B1D1CFA FF015612
	v_mul_f32_dpp v143, v18, v143 row_newbcast:7 row_mask:0xf bank_mask:0xf// 00000000B258: 0B1F1EFA FF015712
	v_mul_f32_dpp v144, v18, v144 row_newbcast:8 row_mask:0xf bank_mask:0xf// 00000000B260: 0B2120FA FF015812
	v_mul_f32_dpp v145, v18, v145 row_newbcast:9 row_mask:0xf bank_mask:0xf// 00000000B268: 0B2322FA FF015912
	v_mul_f32_dpp v146, v18, v146 row_newbcast:10 row_mask:0xf bank_mask:0xf// 00000000B270: 0B2524FA FF015A12
	v_mul_f32_dpp v147, v18, v147 row_newbcast:11 row_mask:0xf bank_mask:0xf// 00000000B278: 0B2726FA FF015B12
	v_mul_f32_dpp v148, v18, v148 row_newbcast:8 row_mask:0xf bank_mask:0xf// 00000000B280: 0B2928FA FF015812
	v_mul_f32_dpp v149, v18, v149 row_newbcast:9 row_mask:0xf bank_mask:0xf// 00000000B288: 0B2B2AFA FF015912
	v_mul_f32_dpp v150, v18, v150 row_newbcast:10 row_mask:0xf bank_mask:0xf// 00000000B290: 0B2D2CFA FF015A12
	v_mul_f32_dpp v151, v18, v151 row_newbcast:11 row_mask:0xf bank_mask:0xf// 00000000B298: 0B2F2EFA FF015B12
	v_mul_f32_dpp v152, v18, v152 row_newbcast:12 row_mask:0xf bank_mask:0xf// 00000000B2A0: 0B3130FA FF015C12
	v_mul_f32_dpp v153, v18, v153 row_newbcast:13 row_mask:0xf bank_mask:0xf// 00000000B2A8: 0B3332FA FF015D12
	v_mul_f32_dpp v154, v18, v154 row_newbcast:14 row_mask:0xf bank_mask:0xf// 00000000B2B0: 0B3534FA FF015E12
	v_mul_f32_dpp v155, v18, v155 row_newbcast:15 row_mask:0xf bank_mask:0xf// 00000000B2B8: 0B3736FA FF015F12
	v_mul_f32_dpp v156, v18, v156 row_newbcast:12 row_mask:0xf bank_mask:0xf// 00000000B2C0: 0B3938FA FF015C12
	v_mul_f32_dpp v157, v18, v157 row_newbcast:13 row_mask:0xf bank_mask:0xf// 00000000B2C8: 0B3B3AFA FF015D12
	v_mul_f32_dpp v158, v18, v158 row_newbcast:14 row_mask:0xf bank_mask:0xf// 00000000B2D0: 0B3D3CFA FF015E12
	v_mul_f32_dpp v159, v18, v159 row_newbcast:15 row_mask:0xf bank_mask:0xf// 00000000B2D8: 0B3F3EFA FF015F12
	v_mul_f32_dpp v160, v19, v160 row_newbcast:0 row_mask:0xf bank_mask:0xf// 00000000B2E0: 0B4140FA FF015013
	v_mul_f32_dpp v161, v19, v161 row_newbcast:1 row_mask:0xf bank_mask:0xf// 00000000B2E8: 0B4342FA FF015113
	v_mul_f32_dpp v162, v19, v162 row_newbcast:2 row_mask:0xf bank_mask:0xf// 00000000B2F0: 0B4544FA FF015213
	v_mul_f32_dpp v163, v19, v163 row_newbcast:3 row_mask:0xf bank_mask:0xf// 00000000B2F8: 0B4746FA FF015313
	v_mul_f32_dpp v164, v19, v164 row_newbcast:0 row_mask:0xf bank_mask:0xf// 00000000B300: 0B4948FA FF015013
	v_mul_f32_dpp v165, v19, v165 row_newbcast:1 row_mask:0xf bank_mask:0xf// 00000000B308: 0B4B4AFA FF015113
	v_mul_f32_dpp v166, v19, v166 row_newbcast:2 row_mask:0xf bank_mask:0xf// 00000000B310: 0B4D4CFA FF015213
	v_mul_f32_dpp v167, v19, v167 row_newbcast:3 row_mask:0xf bank_mask:0xf// 00000000B318: 0B4F4EFA FF015313
	v_mul_f32_dpp v168, v19, v168 row_newbcast:4 row_mask:0xf bank_mask:0xf// 00000000B320: 0B5150FA FF015413
	v_mul_f32_dpp v169, v19, v169 row_newbcast:5 row_mask:0xf bank_mask:0xf// 00000000B328: 0B5352FA FF015513
	v_mul_f32_dpp v170, v19, v170 row_newbcast:6 row_mask:0xf bank_mask:0xf// 00000000B330: 0B5554FA FF015613
	v_mul_f32_dpp v171, v19, v171 row_newbcast:7 row_mask:0xf bank_mask:0xf// 00000000B338: 0B5756FA FF015713
	v_mul_f32_dpp v172, v19, v172 row_newbcast:4 row_mask:0xf bank_mask:0xf// 00000000B340: 0B5958FA FF015413
	v_mul_f32_dpp v173, v19, v173 row_newbcast:5 row_mask:0xf bank_mask:0xf// 00000000B348: 0B5B5AFA FF015513
	v_mul_f32_dpp v174, v19, v174 row_newbcast:6 row_mask:0xf bank_mask:0xf// 00000000B350: 0B5D5CFA FF015613
	v_mul_f32_dpp v175, v19, v175 row_newbcast:7 row_mask:0xf bank_mask:0xf// 00000000B358: 0B5F5EFA FF015713
	v_mul_f32_dpp v176, v19, v176 row_newbcast:8 row_mask:0xf bank_mask:0xf// 00000000B360: 0B6160FA FF015813
	v_mul_f32_dpp v177, v19, v177 row_newbcast:9 row_mask:0xf bank_mask:0xf// 00000000B368: 0B6362FA FF015913
	v_mul_f32_dpp v178, v19, v178 row_newbcast:10 row_mask:0xf bank_mask:0xf// 00000000B370: 0B6564FA FF015A13
	v_mul_f32_dpp v179, v19, v179 row_newbcast:11 row_mask:0xf bank_mask:0xf// 00000000B378: 0B6766FA FF015B13
	v_mul_f32_dpp v180, v19, v180 row_newbcast:8 row_mask:0xf bank_mask:0xf// 00000000B380: 0B6968FA FF015813
	v_mul_f32_dpp v181, v19, v181 row_newbcast:9 row_mask:0xf bank_mask:0xf// 00000000B388: 0B6B6AFA FF015913
	v_mul_f32_dpp v182, v19, v182 row_newbcast:10 row_mask:0xf bank_mask:0xf// 00000000B390: 0B6D6CFA FF015A13
	v_mul_f32_dpp v183, v19, v183 row_newbcast:11 row_mask:0xf bank_mask:0xf// 00000000B398: 0B6F6EFA FF015B13
	v_mul_f32_dpp v184, v19, v184 row_newbcast:12 row_mask:0xf bank_mask:0xf// 00000000B3A0: 0B7170FA FF015C13
	v_mul_f32_dpp v185, v19, v185 row_newbcast:13 row_mask:0xf bank_mask:0xf// 00000000B3A8: 0B7372FA FF015D13
	v_mul_f32_dpp v186, v19, v186 row_newbcast:14 row_mask:0xf bank_mask:0xf// 00000000B3B0: 0B7574FA FF015E13
	v_mul_f32_dpp v187, v19, v187 row_newbcast:15 row_mask:0xf bank_mask:0xf// 00000000B3B8: 0B7776FA FF015F13
	v_mul_f32_dpp v188, v19, v188 row_newbcast:12 row_mask:0xf bank_mask:0xf// 00000000B3C0: 0B7978FA FF015C13
	v_mul_f32_dpp v189, v19, v189 row_newbcast:13 row_mask:0xf bank_mask:0xf// 00000000B3C8: 0B7B7AFA FF015D13
	v_mul_f32_dpp v190, v19, v190 row_newbcast:14 row_mask:0xf bank_mask:0xf// 00000000B3D0: 0B7D7CFA FF015E13
	v_mul_f32_dpp v191, v19, v191 row_newbcast:15 row_mask:0xf bank_mask:0xf// 00000000B3D8: 0B7F7EFA FF015F13
	buffer_load_dword v12, v5, s[16:19], 0 offen               // 00000000B3E0: E0501000 80040C05
	v_mov_b32_e32 v22, 0x358637bd                              // 00000000B3E8: 7E2C02FF 358637BD
	v_mov_b32_e32 v23, 0x358637bd                              // 00000000B3F0: 7E2E02FF 358637BD
	v_max3_f32 v22, |v128|, |v129|, v22                        // 00000000B3F8: D1D30316 045B0380
	v_max3_f32 v22, |v130|, |v131|, v22                        // 00000000B400: D1D30316 045B0782
	v_max3_f32 v23, |v132|, |v133|, v23                        // 00000000B408: D1D30317 045F0B84
	v_max3_f32 v23, |v134|, |v135|, v23                        // 00000000B410: D1D30317 045F0F86
	v_max3_f32 v22, |v136|, |v137|, v22                        // 00000000B418: D1D30316 045B1388
	v_max3_f32 v22, |v138|, |v139|, v22                        // 00000000B420: D1D30316 045B178A
	v_max3_f32 v23, |v140|, |v141|, v23                        // 00000000B428: D1D30317 045F1B8C
	v_max3_f32 v23, |v142|, |v143|, v23                        // 00000000B430: D1D30317 045F1F8E
	v_max3_f32 v22, |v144|, |v145|, v22                        // 00000000B438: D1D30316 045B2390
	v_max3_f32 v22, |v146|, |v147|, v22                        // 00000000B440: D1D30316 045B2792
	v_max3_f32 v23, |v148|, |v149|, v23                        // 00000000B448: D1D30317 045F2B94
	v_max3_f32 v23, |v150|, |v151|, v23                        // 00000000B450: D1D30317 045F2F96
	v_max3_f32 v22, |v152|, |v153|, v22                        // 00000000B458: D1D30316 045B3398
	v_max3_f32 v22, |v154|, |v155|, v22                        // 00000000B460: D1D30316 045B379A
	v_max3_f32 v23, |v156|, |v157|, v23                        // 00000000B468: D1D30317 045F3B9C
	v_max3_f32 v23, |v158|, |v159|, v23                        // 00000000B470: D1D30317 045F3F9E
	v_max3_f32 v22, |v160|, |v161|, v22                        // 00000000B478: D1D30316 045B43A0
	v_max3_f32 v22, |v162|, |v163|, v22                        // 00000000B480: D1D30316 045B47A2
	v_max3_f32 v23, |v164|, |v165|, v23                        // 00000000B488: D1D30317 045F4BA4
	v_max3_f32 v23, |v166|, |v167|, v23                        // 00000000B490: D1D30317 045F4FA6
	v_max3_f32 v22, |v168|, |v169|, v22                        // 00000000B498: D1D30316 045B53A8
	v_max3_f32 v22, |v170|, |v171|, v22                        // 00000000B4A0: D1D30316 045B57AA
	v_max3_f32 v23, |v172|, |v173|, v23                        // 00000000B4A8: D1D30317 045F5BAC
	v_max3_f32 v23, |v174|, |v175|, v23                        // 00000000B4B0: D1D30317 045F5FAE
	v_max3_f32 v22, |v176|, |v177|, v22                        // 00000000B4B8: D1D30316 045B63B0
	v_max3_f32 v22, |v178|, |v179|, v22                        // 00000000B4C0: D1D30316 045B67B2
	v_max3_f32 v23, |v180|, |v181|, v23                        // 00000000B4C8: D1D30317 045F6BB4
	v_max3_f32 v23, |v182|, |v183|, v23                        // 00000000B4D0: D1D30317 045F6FB6
	v_max3_f32 v22, |v184|, |v185|, v22                        // 00000000B4D8: D1D30316 045B73B8
	v_max3_f32 v22, |v186|, |v187|, v22                        // 00000000B4E0: D1D30316 045B77BA
	v_max3_f32 v23, |v188|, |v189|, v23                        // 00000000B4E8: D1D30317 045F7BBC
	v_max3_f32 v23, |v190|, |v191|, v23                        // 00000000B4F0: D1D30317 045F7FBE
	v_lshlrev_b32_e32 v44, 3, v0                               // 00000000B4F8: 24580083
	s_mul_i32 s60, 0x200, s5                                   // 00000000B4FC: 923C05FF 00000200
	v_add_u32_e32 v44, s60, v44                                // 00000000B504: 6858583C
	ds_write_b64 v44, v[22:23]                                 // 00000000B508: D89A0000 0000162C
	s_waitcnt lgkmcnt(0)                                       // 00000000B510: BF8CC07F
	s_barrier                                                  // 00000000B514: BF8A0000
	v_and_b32_e32 v44, 15, v0                                  // 00000000B518: 2658008F
	v_lshlrev_b32_e32 v44, 3, v44                              // 00000000B51C: 24585883
	ds_read_b64 v[96:97], v44                                  // 00000000B520: D8EC0000 6000002C
	ds_read_b64 v[98:99], v44 offset:128                       // 00000000B528: D8EC0080 6200002C
	ds_read_b64 v[100:101], v44 offset:256                     // 00000000B530: D8EC0100 6400002C
	ds_read_b64 v[102:103], v44 offset:384                     // 00000000B538: D8EC0180 6600002C
	ds_read_b64 v[104:105], v44 offset:512                     // 00000000B540: D8EC0200 6800002C
	ds_read_b64 v[106:107], v44 offset:640                     // 00000000B548: D8EC0280 6A00002C
	ds_read_b64 v[108:109], v44 offset:768                     // 00000000B550: D8EC0300 6C00002C
	ds_read_b64 v[110:111], v44 offset:896                     // 00000000B558: D8EC0380 6E00002C
	ds_read_b64 v[112:113], v44 offset:1024                    // 00000000B560: D8EC0400 7000002C
	ds_read_b64 v[114:115], v44 offset:1152                    // 00000000B568: D8EC0480 7200002C
	ds_read_b64 v[116:117], v44 offset:1280                    // 00000000B570: D8EC0500 7400002C
	ds_read_b64 v[118:119], v44 offset:1408                    // 00000000B578: D8EC0580 7600002C
	ds_read_b64 v[120:121], v44 offset:1536                    // 00000000B580: D8EC0600 7800002C
	ds_read_b64 v[122:123], v44 offset:1664                    // 00000000B588: D8EC0680 7A00002C
	ds_read_b64 v[124:125], v44 offset:1792                    // 00000000B590: D8EC0700 7C00002C
	ds_read_b64 v[126:127], v44 offset:1920                    // 00000000B598: D8EC0780 7E00002C
	s_waitcnt lgkmcnt(0)                                       // 00000000B5A0: BF8CC07F
	v_max3_f32 v22, |v96|, |v98|, v22                          // 00000000B5A4: D1D30316 045AC560
	v_max3_f32 v23, |v97|, |v99|, v23                          // 00000000B5AC: D1D30317 045EC761
	v_max3_f32 v22, |v100|, |v102|, v22                        // 00000000B5B4: D1D30316 045ACD64
	v_max3_f32 v23, |v101|, |v103|, v23                        // 00000000B5BC: D1D30317 045ECF65
	v_max3_f32 v22, |v104|, |v106|, v22                        // 00000000B5C4: D1D30316 045AD568
	v_max3_f32 v23, |v105|, |v107|, v23                        // 00000000B5CC: D1D30317 045ED769
	v_max3_f32 v22, |v108|, |v110|, v22                        // 00000000B5D4: D1D30316 045ADD6C
	v_max3_f32 v23, |v109|, |v111|, v23                        // 00000000B5DC: D1D30317 045EDF6D
	v_max3_f32 v22, |v112|, |v114|, v22                        // 00000000B5E4: D1D30316 045AE570
	v_max3_f32 v23, |v113|, |v115|, v23                        // 00000000B5EC: D1D30317 045EE771
	v_max3_f32 v22, |v116|, |v118|, v22                        // 00000000B5F4: D1D30316 045AED74
	v_max3_f32 v23, |v117|, |v119|, v23                        // 00000000B5FC: D1D30317 045EEF75
	v_max3_f32 v22, |v120|, |v122|, v22                        // 00000000B604: D1D30316 045AF578
	v_max3_f32 v23, |v121|, |v123|, v23                        // 00000000B60C: D1D30317 045EF779
	v_max3_f32 v22, |v124|, |v126|, v22                        // 00000000B614: D1D30316 045AFD7C
	v_max3_f32 v23, |v125|, |v127|, v23                        // 00000000B61C: D1D30317 045EFF7D
	v_rcp_f32_e32 v22, v22                                     // 00000000B624: 7E2C4516
	v_rcp_f32_e32 v23, v23                                     // 00000000B628: 7E2E4517
	v_mul_f32_e32 v22, 0x42fe0000, v22                         // 00000000B62C: 0A2C2CFF 42FE0000
	v_mul_f32_e32 v23, 0x42fe0000, v23                         // 00000000B634: 0A2E2EFF 42FE0000
	v_mul_f32_e32 v128, v22, v128                              // 00000000B63C: 0B010116
	v_mul_f32_e32 v129, v22, v129                              // 00000000B640: 0B030316
	v_mul_f32_e32 v130, v22, v130                              // 00000000B644: 0B050516
	v_mul_f32_e32 v131, v22, v131                              // 00000000B648: 0B070716
	v_cvt_i32_f32_e32 v128, v128                               // 00000000B64C: 7F001180
	v_cvt_i32_f32_e32 v129, v129                               // 00000000B650: 7F021181
	v_cvt_i32_f32_e32 v130, v130                               // 00000000B654: 7F041182
	v_cvt_i32_f32_e32 v131, v131                               // 00000000B658: 7F061183
	v_perm_b32 v128, v129, v128, s53                           // 00000000B65C: D1ED0080 00D70181
	v_perm_b32 v128, v130, v128, s54                           // 00000000B664: D1ED0080 00DB0182
	v_perm_b32 v128, v131, v128, s55                           // 00000000B66C: D1ED0080 00DF0183
	v_mul_f32_e32 v132, v23, v132                              // 00000000B674: 0B090917
	v_mul_f32_e32 v133, v23, v133                              // 00000000B678: 0B0B0B17
	v_mul_f32_e32 v134, v23, v134                              // 00000000B67C: 0B0D0D17
	v_mul_f32_e32 v135, v23, v135                              // 00000000B680: 0B0F0F17
	v_cvt_i32_f32_e32 v132, v132                               // 00000000B684: 7F081184
	v_cvt_i32_f32_e32 v133, v133                               // 00000000B688: 7F0A1185
	v_cvt_i32_f32_e32 v134, v134                               // 00000000B68C: 7F0C1186
	v_cvt_i32_f32_e32 v135, v135                               // 00000000B690: 7F0E1187
	v_perm_b32 v129, v133, v132, s53                           // 00000000B694: D1ED0081 00D70985
	v_perm_b32 v129, v134, v129, s54                           // 00000000B69C: D1ED0081 00DB0386
	v_perm_b32 v129, v135, v129, s55                           // 00000000B6A4: D1ED0081 00DF0387
	v_mul_f32_e32 v136, v22, v136                              // 00000000B6AC: 0B111116
	v_mul_f32_e32 v137, v22, v137                              // 00000000B6B0: 0B131316
	v_mul_f32_e32 v138, v22, v138                              // 00000000B6B4: 0B151516
	v_mul_f32_e32 v139, v22, v139                              // 00000000B6B8: 0B171716
	v_cvt_i32_f32_e32 v136, v136                               // 00000000B6BC: 7F101188
	v_cvt_i32_f32_e32 v137, v137                               // 00000000B6C0: 7F121189
	v_cvt_i32_f32_e32 v138, v138                               // 00000000B6C4: 7F14118A
	v_cvt_i32_f32_e32 v139, v139                               // 00000000B6C8: 7F16118B
	v_perm_b32 v130, v137, v136, s53                           // 00000000B6CC: D1ED0082 00D71189
	v_perm_b32 v130, v138, v130, s54                           // 00000000B6D4: D1ED0082 00DB058A
	v_perm_b32 v130, v139, v130, s55                           // 00000000B6DC: D1ED0082 00DF058B
	v_mul_f32_e32 v140, v23, v140                              // 00000000B6E4: 0B191917
	v_mul_f32_e32 v141, v23, v141                              // 00000000B6E8: 0B1B1B17
	v_mul_f32_e32 v142, v23, v142                              // 00000000B6EC: 0B1D1D17
	v_mul_f32_e32 v143, v23, v143                              // 00000000B6F0: 0B1F1F17
	v_cvt_i32_f32_e32 v140, v140                               // 00000000B6F4: 7F18118C
	v_cvt_i32_f32_e32 v141, v141                               // 00000000B6F8: 7F1A118D
	v_cvt_i32_f32_e32 v142, v142                               // 00000000B6FC: 7F1C118E
	v_cvt_i32_f32_e32 v143, v143                               // 00000000B700: 7F1E118F
	v_perm_b32 v131, v141, v140, s53                           // 00000000B704: D1ED0083 00D7198D
	v_perm_b32 v131, v142, v131, s54                           // 00000000B70C: D1ED0083 00DB078E
	v_perm_b32 v131, v143, v131, s55                           // 00000000B714: D1ED0083 00DF078F
	v_mul_f32_e32 v144, v22, v144                              // 00000000B71C: 0B212116
	v_mul_f32_e32 v145, v22, v145                              // 00000000B720: 0B232316
	v_mul_f32_e32 v146, v22, v146                              // 00000000B724: 0B252516
	v_mul_f32_e32 v147, v22, v147                              // 00000000B728: 0B272716
	v_cvt_i32_f32_e32 v144, v144                               // 00000000B72C: 7F201190
	v_cvt_i32_f32_e32 v145, v145                               // 00000000B730: 7F221191
	v_cvt_i32_f32_e32 v146, v146                               // 00000000B734: 7F241192
	v_cvt_i32_f32_e32 v147, v147                               // 00000000B738: 7F261193
	v_perm_b32 v132, v145, v144, s53                           // 00000000B73C: D1ED0084 00D72191
	v_perm_b32 v132, v146, v132, s54                           // 00000000B744: D1ED0084 00DB0992
	v_perm_b32 v132, v147, v132, s55                           // 00000000B74C: D1ED0084 00DF0993
	v_mul_f32_e32 v148, v23, v148                              // 00000000B754: 0B292917
	v_mul_f32_e32 v149, v23, v149                              // 00000000B758: 0B2B2B17
	v_mul_f32_e32 v150, v23, v150                              // 00000000B75C: 0B2D2D17
	v_mul_f32_e32 v151, v23, v151                              // 00000000B760: 0B2F2F17
	v_cvt_i32_f32_e32 v148, v148                               // 00000000B764: 7F281194
	v_cvt_i32_f32_e32 v149, v149                               // 00000000B768: 7F2A1195
	v_cvt_i32_f32_e32 v150, v150                               // 00000000B76C: 7F2C1196
	v_cvt_i32_f32_e32 v151, v151                               // 00000000B770: 7F2E1197
	v_perm_b32 v133, v149, v148, s53                           // 00000000B774: D1ED0085 00D72995
	v_perm_b32 v133, v150, v133, s54                           // 00000000B77C: D1ED0085 00DB0B96
	v_perm_b32 v133, v151, v133, s55                           // 00000000B784: D1ED0085 00DF0B97
	v_mul_f32_e32 v152, v22, v152                              // 00000000B78C: 0B313116
	v_mul_f32_e32 v153, v22, v153                              // 00000000B790: 0B333316
	v_mul_f32_e32 v154, v22, v154                              // 00000000B794: 0B353516
	v_mul_f32_e32 v155, v22, v155                              // 00000000B798: 0B373716
	v_cvt_i32_f32_e32 v152, v152                               // 00000000B79C: 7F301198
	v_cvt_i32_f32_e32 v153, v153                               // 00000000B7A0: 7F321199
	v_cvt_i32_f32_e32 v154, v154                               // 00000000B7A4: 7F34119A
	v_cvt_i32_f32_e32 v155, v155                               // 00000000B7A8: 7F36119B
	v_perm_b32 v134, v153, v152, s53                           // 00000000B7AC: D1ED0086 00D73199
	v_perm_b32 v134, v154, v134, s54                           // 00000000B7B4: D1ED0086 00DB0D9A
	v_perm_b32 v134, v155, v134, s55                           // 00000000B7BC: D1ED0086 00DF0D9B
	v_mul_f32_e32 v156, v23, v156                              // 00000000B7C4: 0B393917
	v_mul_f32_e32 v157, v23, v157                              // 00000000B7C8: 0B3B3B17
	v_mul_f32_e32 v158, v23, v158                              // 00000000B7CC: 0B3D3D17
	v_mul_f32_e32 v159, v23, v159                              // 00000000B7D0: 0B3F3F17
	v_cvt_i32_f32_e32 v156, v156                               // 00000000B7D4: 7F38119C
	v_cvt_i32_f32_e32 v157, v157                               // 00000000B7D8: 7F3A119D
	v_cvt_i32_f32_e32 v158, v158                               // 00000000B7DC: 7F3C119E
	v_cvt_i32_f32_e32 v159, v159                               // 00000000B7E0: 7F3E119F
	v_perm_b32 v135, v157, v156, s53                           // 00000000B7E4: D1ED0087 00D7399D
	v_perm_b32 v135, v158, v135, s54                           // 00000000B7EC: D1ED0087 00DB0F9E
	v_perm_b32 v135, v159, v135, s55                           // 00000000B7F4: D1ED0087 00DF0F9F
	v_mul_f32_e32 v160, v22, v160                              // 00000000B7FC: 0B414116
	v_mul_f32_e32 v161, v22, v161                              // 00000000B800: 0B434316
	v_mul_f32_e32 v162, v22, v162                              // 00000000B804: 0B454516
	v_mul_f32_e32 v163, v22, v163                              // 00000000B808: 0B474716
	v_cvt_i32_f32_e32 v160, v160                               // 00000000B80C: 7F4011A0
	v_cvt_i32_f32_e32 v161, v161                               // 00000000B810: 7F4211A1
	v_cvt_i32_f32_e32 v162, v162                               // 00000000B814: 7F4411A2
	v_cvt_i32_f32_e32 v163, v163                               // 00000000B818: 7F4611A3
	v_perm_b32 v136, v161, v160, s53                           // 00000000B81C: D1ED0088 00D741A1
	v_perm_b32 v136, v162, v136, s54                           // 00000000B824: D1ED0088 00DB11A2
	v_perm_b32 v136, v163, v136, s55                           // 00000000B82C: D1ED0088 00DF11A3
	v_mul_f32_e32 v164, v23, v164                              // 00000000B834: 0B494917
	v_mul_f32_e32 v165, v23, v165                              // 00000000B838: 0B4B4B17
	v_mul_f32_e32 v166, v23, v166                              // 00000000B83C: 0B4D4D17
	v_mul_f32_e32 v167, v23, v167                              // 00000000B840: 0B4F4F17
	v_cvt_i32_f32_e32 v164, v164                               // 00000000B844: 7F4811A4
	v_cvt_i32_f32_e32 v165, v165                               // 00000000B848: 7F4A11A5
	v_cvt_i32_f32_e32 v166, v166                               // 00000000B84C: 7F4C11A6
	v_cvt_i32_f32_e32 v167, v167                               // 00000000B850: 7F4E11A7
	v_perm_b32 v137, v165, v164, s53                           // 00000000B854: D1ED0089 00D749A5
	v_perm_b32 v137, v166, v137, s54                           // 00000000B85C: D1ED0089 00DB13A6
	v_perm_b32 v137, v167, v137, s55                           // 00000000B864: D1ED0089 00DF13A7
	v_mul_f32_e32 v168, v22, v168                              // 00000000B86C: 0B515116
	v_mul_f32_e32 v169, v22, v169                              // 00000000B870: 0B535316
	v_mul_f32_e32 v170, v22, v170                              // 00000000B874: 0B555516
	v_mul_f32_e32 v171, v22, v171                              // 00000000B878: 0B575716
	v_cvt_i32_f32_e32 v168, v168                               // 00000000B87C: 7F5011A8
	v_cvt_i32_f32_e32 v169, v169                               // 00000000B880: 7F5211A9
	v_cvt_i32_f32_e32 v170, v170                               // 00000000B884: 7F5411AA
	v_cvt_i32_f32_e32 v171, v171                               // 00000000B888: 7F5611AB
	v_perm_b32 v138, v169, v168, s53                           // 00000000B88C: D1ED008A 00D751A9
	v_perm_b32 v138, v170, v138, s54                           // 00000000B894: D1ED008A 00DB15AA
	v_perm_b32 v138, v171, v138, s55                           // 00000000B89C: D1ED008A 00DF15AB
	v_mul_f32_e32 v172, v23, v172                              // 00000000B8A4: 0B595917
	v_mul_f32_e32 v173, v23, v173                              // 00000000B8A8: 0B5B5B17
	v_mul_f32_e32 v174, v23, v174                              // 00000000B8AC: 0B5D5D17
	v_mul_f32_e32 v175, v23, v175                              // 00000000B8B0: 0B5F5F17
	v_cvt_i32_f32_e32 v172, v172                               // 00000000B8B4: 7F5811AC
	v_cvt_i32_f32_e32 v173, v173                               // 00000000B8B8: 7F5A11AD
	v_cvt_i32_f32_e32 v174, v174                               // 00000000B8BC: 7F5C11AE
	v_cvt_i32_f32_e32 v175, v175                               // 00000000B8C0: 7F5E11AF
	v_perm_b32 v139, v173, v172, s53                           // 00000000B8C4: D1ED008B 00D759AD
	v_perm_b32 v139, v174, v139, s54                           // 00000000B8CC: D1ED008B 00DB17AE
	v_perm_b32 v139, v175, v139, s55                           // 00000000B8D4: D1ED008B 00DF17AF
	v_mul_f32_e32 v176, v22, v176                              // 00000000B8DC: 0B616116
	v_mul_f32_e32 v177, v22, v177                              // 00000000B8E0: 0B636316
	v_mul_f32_e32 v178, v22, v178                              // 00000000B8E4: 0B656516
	v_mul_f32_e32 v179, v22, v179                              // 00000000B8E8: 0B676716
	v_cvt_i32_f32_e32 v176, v176                               // 00000000B8EC: 7F6011B0
	v_cvt_i32_f32_e32 v177, v177                               // 00000000B8F0: 7F6211B1
	v_cvt_i32_f32_e32 v178, v178                               // 00000000B8F4: 7F6411B2
	v_cvt_i32_f32_e32 v179, v179                               // 00000000B8F8: 7F6611B3
	v_perm_b32 v140, v177, v176, s53                           // 00000000B8FC: D1ED008C 00D761B1
	v_perm_b32 v140, v178, v140, s54                           // 00000000B904: D1ED008C 00DB19B2
	v_perm_b32 v140, v179, v140, s55                           // 00000000B90C: D1ED008C 00DF19B3
	v_mul_f32_e32 v180, v23, v180                              // 00000000B914: 0B696917
	v_mul_f32_e32 v181, v23, v181                              // 00000000B918: 0B6B6B17
	v_mul_f32_e32 v182, v23, v182                              // 00000000B91C: 0B6D6D17
	v_mul_f32_e32 v183, v23, v183                              // 00000000B920: 0B6F6F17
	v_cvt_i32_f32_e32 v180, v180                               // 00000000B924: 7F6811B4
	v_cvt_i32_f32_e32 v181, v181                               // 00000000B928: 7F6A11B5
	v_cvt_i32_f32_e32 v182, v182                               // 00000000B92C: 7F6C11B6
	v_cvt_i32_f32_e32 v183, v183                               // 00000000B930: 7F6E11B7
	v_perm_b32 v141, v181, v180, s53                           // 00000000B934: D1ED008D 00D769B5
	v_perm_b32 v141, v182, v141, s54                           // 00000000B93C: D1ED008D 00DB1BB6
	v_perm_b32 v141, v183, v141, s55                           // 00000000B944: D1ED008D 00DF1BB7
	v_mul_f32_e32 v184, v22, v184                              // 00000000B94C: 0B717116
	v_mul_f32_e32 v185, v22, v185                              // 00000000B950: 0B737316
	v_mul_f32_e32 v186, v22, v186                              // 00000000B954: 0B757516
	v_mul_f32_e32 v187, v22, v187                              // 00000000B958: 0B777716
	v_cvt_i32_f32_e32 v184, v184                               // 00000000B95C: 7F7011B8
	v_cvt_i32_f32_e32 v185, v185                               // 00000000B960: 7F7211B9
	v_cvt_i32_f32_e32 v186, v186                               // 00000000B964: 7F7411BA
	v_cvt_i32_f32_e32 v187, v187                               // 00000000B968: 7F7611BB
	v_perm_b32 v142, v185, v184, s53                           // 00000000B96C: D1ED008E 00D771B9
	v_perm_b32 v142, v186, v142, s54                           // 00000000B974: D1ED008E 00DB1DBA
	v_perm_b32 v142, v187, v142, s55                           // 00000000B97C: D1ED008E 00DF1DBB
	v_mul_f32_e32 v188, v23, v188                              // 00000000B984: 0B797917
	v_mul_f32_e32 v189, v23, v189                              // 00000000B988: 0B7B7B17
	v_mul_f32_e32 v190, v23, v190                              // 00000000B98C: 0B7D7D17
	v_mul_f32_e32 v191, v23, v191                              // 00000000B990: 0B7F7F17
	v_cvt_i32_f32_e32 v188, v188                               // 00000000B994: 7F7811BC
	v_cvt_i32_f32_e32 v189, v189                               // 00000000B998: 7F7A11BD
	v_cvt_i32_f32_e32 v190, v190                               // 00000000B99C: 7F7C11BE
	v_cvt_i32_f32_e32 v191, v191                               // 00000000B9A0: 7F7E11BF
	v_perm_b32 v143, v189, v188, s53                           // 00000000B9A4: D1ED008F 00D779BD
	v_perm_b32 v143, v190, v143, s54                           // 00000000B9AC: D1ED008F 00DB1FBE
	v_perm_b32 v143, v191, v143, s55                           // 00000000B9B4: D1ED008F 00DF1FBF
	v_rcp_f32_e32 v24, v22                                     // 00000000B9BC: 7E304516
	v_rcp_f32_e32 v25, v23                                     // 00000000B9C0: 7E324517
	v_lshrrev_b32_e32 v44, 5, v0                               // 00000000B9C4: 20580085
	v_lshlrev_b32_e32 v45, 5, v44                              // 00000000B9C8: 245A5885
	v_and_b32_e32 v44, 31, v0                                  // 00000000B9CC: 2658009F
	v_lshrrev_b32_e32 v46, 4, v44                              // 00000000B9D0: 205C5884
	v_add_u32_e32 v45, v46, v45                                // 00000000B9D4: 685A5B2E
	v_and_b32_e32 v44, 15, v0                                  // 00000000B9D8: 2658008F
	v_lshlrev_b32_e32 v44, 1, v44                              // 00000000B9DC: 24585881
	v_add_u32_e32 v45, v44, v45                                // 00000000B9E0: 685A5B2C
	v_lshlrev_b32_e32 v44, 2, v45                              // 00000000B9E4: 24585A82
	s_mul_i32 s60, 0x100, s5                                   // 00000000B9E8: 923C05FF 00000100
	v_add_u32_e64 v44, v44, s60                                // 00000000B9F0: D134002C 0000792C
	ds_write_b32 v44, v128 offset:2048                         // 00000000B9F8: D81A0800 0000802C
	ds_write_b32 v44, v129 offset:10240                        // 00000000BA00: D81A2800 0000812C
	ds_write_b32 v44, v130 offset:3072                         // 00000000BA08: D81A0C00 0000822C
	ds_write_b32 v44, v131 offset:11264                        // 00000000BA10: D81A2C00 0000832C
	ds_write_b32 v44, v132 offset:4096                         // 00000000BA18: D81A1000 0000842C
	ds_write_b32 v44, v133 offset:12288                        // 00000000BA20: D81A3000 0000852C
	ds_write_b32 v44, v134 offset:5120                         // 00000000BA28: D81A1400 0000862C
	ds_write_b32 v44, v135 offset:13312                        // 00000000BA30: D81A3400 0000872C
	ds_write_b32 v44, v136 offset:6144                         // 00000000BA38: D81A1800 0000882C
	ds_write_b32 v44, v137 offset:14336                        // 00000000BA40: D81A3800 0000892C
	ds_write_b32 v44, v138 offset:7168                         // 00000000BA48: D81A1C00 00008A2C
	ds_write_b32 v44, v139 offset:15360                        // 00000000BA50: D81A3C00 00008B2C
	ds_write_b32 v44, v140 offset:8192                         // 00000000BA58: D81A2000 00008C2C
	ds_write_b32 v44, v141 offset:16384                        // 00000000BA60: D81A4000 00008D2C
	ds_write_b32 v44, v142 offset:9216                         // 00000000BA68: D81A2400 00008E2C
	ds_write_b32 v44, v143 offset:17408                        // 00000000BA70: D81A4400 00008F2C
	s_waitcnt lgkmcnt(0)                                       // 00000000BA78: BF8CC07F
	s_barrier                                                  // 00000000BA7C: BF8A0000
	v_lshrrev_b32_e32 v44, 4, v0                               // 00000000BA80: 20580084
	v_lshlrev_b32_e32 v45, 6, v44                              // 00000000BA84: 245A5886
	v_and_b32_e32 v44, 15, v0                                  // 00000000BA88: 2658008F
	v_lshlrev_b32_e32 v44, 1, v44                              // 00000000BA8C: 24585881
	v_add_u32_e32 v45, v44, v45                                // 00000000BA90: 685A5B2C
	v_lshlrev_b32_e32 v44, 2, v45                              // 00000000BA94: 24585A82
	ds_read_b64 v[128:129], v44 offset:2048                    // 00000000BA98: D8EC0800 8000002C
	ds_read_b64 v[130:131], v44 offset:2176                    // 00000000BAA0: D8EC0880 8200002C
	ds_read_b64 v[132:133], v44 offset:3072                    // 00000000BAA8: D8EC0C00 8400002C
	ds_read_b64 v[134:135], v44 offset:3200                    // 00000000BAB0: D8EC0C80 8600002C
	ds_read_b64 v[136:137], v44 offset:4096                    // 00000000BAB8: D8EC1000 8800002C
	ds_read_b64 v[138:139], v44 offset:4224                    // 00000000BAC0: D8EC1080 8A00002C
	ds_read_b64 v[140:141], v44 offset:5120                    // 00000000BAC8: D8EC1400 8C00002C
	ds_read_b64 v[142:143], v44 offset:5248                    // 00000000BAD0: D8EC1480 8E00002C
	ds_read_b64 v[144:145], v44 offset:6144                    // 00000000BAD8: D8EC1800 9000002C
	ds_read_b64 v[146:147], v44 offset:6272                    // 00000000BAE0: D8EC1880 9200002C
	ds_read_b64 v[148:149], v44 offset:7168                    // 00000000BAE8: D8EC1C00 9400002C
	ds_read_b64 v[150:151], v44 offset:7296                    // 00000000BAF0: D8EC1C80 9600002C
	ds_read_b64 v[152:153], v44 offset:8192                    // 00000000BAF8: D8EC2000 9800002C
	ds_read_b64 v[154:155], v44 offset:8320                    // 00000000BB00: D8EC2080 9A00002C
	ds_read_b64 v[156:157], v44 offset:9216                    // 00000000BB08: D8EC2400 9C00002C
	ds_read_b64 v[158:159], v44 offset:9344                    // 00000000BB10: D8EC2480 9E00002C
	ds_read_b64 v[160:161], v44 offset:10240                   // 00000000BB18: D8EC2800 A000002C
	ds_read_b64 v[162:163], v44 offset:10368                   // 00000000BB20: D8EC2880 A200002C
	ds_read_b64 v[164:165], v44 offset:11264                   // 00000000BB28: D8EC2C00 A400002C
	ds_read_b64 v[166:167], v44 offset:11392                   // 00000000BB30: D8EC2C80 A600002C
	ds_read_b64 v[168:169], v44 offset:12288                   // 00000000BB38: D8EC3000 A800002C
	ds_read_b64 v[170:171], v44 offset:12416                   // 00000000BB40: D8EC3080 AA00002C
	ds_read_b64 v[172:173], v44 offset:13312                   // 00000000BB48: D8EC3400 AC00002C
	ds_read_b64 v[174:175], v44 offset:13440                   // 00000000BB50: D8EC3480 AE00002C
	ds_read_b64 v[176:177], v44 offset:14336                   // 00000000BB58: D8EC3800 B000002C
	ds_read_b64 v[178:179], v44 offset:14464                   // 00000000BB60: D8EC3880 B200002C
	ds_read_b64 v[180:181], v44 offset:15360                   // 00000000BB68: D8EC3C00 B400002C
	ds_read_b64 v[182:183], v44 offset:15488                   // 00000000BB70: D8EC3C80 B600002C
	ds_read_b64 v[184:185], v44 offset:16384                   // 00000000BB78: D8EC4000 B800002C
	ds_read_b64 v[186:187], v44 offset:16512                   // 00000000BB80: D8EC4080 BA00002C
	ds_read_b64 v[188:189], v44 offset:17408                   // 00000000BB88: D8EC4400 BC00002C
	ds_read_b64 v[190:191], v44 offset:17536                   // 00000000BB90: D8EC4480 BE00002C
	s_add_u32 s12, s56, s12                                    // 00000000BB98: 800C0C38
	s_addc_u32 s13, 0, s13                                     // 00000000BB9C: 820D0D80
	s_add_u32 s16, s79, s16                                    // 00000000BBA0: 8010104F
	s_addc_u32 s17, 0, s17                                     // 00000000BBA4: 82111180
	s_waitcnt lgkmcnt(0)                                       // 00000000BBA8: BF8CC07F
	s_barrier                                                  // 00000000BBAC: BF8A0000
	v_mov_b32_e32 v192, 0                                      // 00000000BBB0: 7F800280
	v_mov_b32_e32 v224, 0                                      // 00000000BBB4: 7FC00280
	v_mov_b32_e32 v193, 0                                      // 00000000BBB8: 7F820280
	v_mov_b32_e32 v225, 0                                      // 00000000BBBC: 7FC20280
	v_mov_b32_e32 v194, 0                                      // 00000000BBC0: 7F840280
	v_mov_b32_e32 v226, 0                                      // 00000000BBC4: 7FC40280
	v_mov_b32_e32 v195, 0                                      // 00000000BBC8: 7F860280
	v_mov_b32_e32 v227, 0                                      // 00000000BBCC: 7FC60280
	v_mov_b32_e32 v196, 0                                      // 00000000BBD0: 7F880280
	v_mov_b32_e32 v228, 0                                      // 00000000BBD4: 7FC80280
	v_mov_b32_e32 v197, 0                                      // 00000000BBD8: 7F8A0280
	v_mov_b32_e32 v229, 0                                      // 00000000BBDC: 7FCA0280
	v_mov_b32_e32 v198, 0                                      // 00000000BBE0: 7F8C0280
	v_mov_b32_e32 v230, 0                                      // 00000000BBE4: 7FCC0280
	v_mov_b32_e32 v199, 0                                      // 00000000BBE8: 7F8E0280
	v_mov_b32_e32 v231, 0                                      // 00000000BBEC: 7FCE0280
	v_mov_b32_e32 v200, 0                                      // 00000000BBF0: 7F900280
	v_mov_b32_e32 v232, 0                                      // 00000000BBF4: 7FD00280
	v_mov_b32_e32 v201, 0                                      // 00000000BBF8: 7F920280
	v_mov_b32_e32 v233, 0                                      // 00000000BBFC: 7FD20280
	v_mov_b32_e32 v202, 0                                      // 00000000BC00: 7F940280
	v_mov_b32_e32 v234, 0                                      // 00000000BC04: 7FD40280
	v_mov_b32_e32 v203, 0                                      // 00000000BC08: 7F960280
	v_mov_b32_e32 v235, 0                                      // 00000000BC0C: 7FD60280
	v_mov_b32_e32 v204, 0                                      // 00000000BC10: 7F980280
	v_mov_b32_e32 v236, 0                                      // 00000000BC14: 7FD80280
	v_mov_b32_e32 v205, 0                                      // 00000000BC18: 7F9A0280
	v_mov_b32_e32 v237, 0                                      // 00000000BC1C: 7FDA0280
	v_mov_b32_e32 v206, 0                                      // 00000000BC20: 7F9C0280
	v_mov_b32_e32 v238, 0                                      // 00000000BC24: 7FDC0280
	v_mov_b32_e32 v207, 0                                      // 00000000BC28: 7F9E0280
	v_mov_b32_e32 v239, 0                                      // 00000000BC2C: 7FDE0280
	v_lshlrev_b32_e32 v44, 2, v0                               // 00000000BC30: 24580082
	s_mul_i32 s60, s86, s71                                    // 00000000BC34: 923C4756
	v_add_u32_e64 v80, v44, s60                                // 00000000BC38: D1340050 0000792C
	v_mov_b32_e32 v81, 0                                       // 00000000BC40: 7EA20280
	s_mul_i32 s60, s87, s71                                    // 00000000BC44: 923C4757
	v_add_u32_e64 v82, v44, s60                                // 00000000BC48: D1340052 0000792C
	v_mov_b32_e32 v83, 0                                       // 00000000BC50: 7EA60280
	s_mul_i32 s60, s88, s71                                    // 00000000BC54: 923C4758
	v_add_u32_e64 v84, v44, s60                                // 00000000BC58: D1340054 0000792C
	v_mov_b32_e32 v85, 0                                       // 00000000BC60: 7EAA0280
	s_mul_i32 s60, s89, s71                                    // 00000000BC64: 923C4759
	v_add_u32_e64 v86, v44, s60                                // 00000000BC68: D1340056 0000792C
	v_mov_b32_e32 v87, 0                                       // 00000000BC70: 7EAE0280
	s_mul_i32 s60, s90, s71                                    // 00000000BC74: 923C475A
	v_add_u32_e64 v88, v44, s60                                // 00000000BC78: D1340058 0000792C
	v_mov_b32_e32 v89, 0                                       // 00000000BC80: 7EB20280
	s_mul_i32 s60, s91, s71                                    // 00000000BC84: 923C475B
	v_add_u32_e64 v90, v44, s60                                // 00000000BC88: D134005A 0000792C
	v_mov_b32_e32 v91, 0                                       // 00000000BC90: 7EB60280
	s_mul_i32 s60, s92, s71                                    // 00000000BC94: 923C475C
	v_add_u32_e64 v92, v44, s60                                // 00000000BC98: D134005C 0000792C
	v_mov_b32_e32 v93, 0                                       // 00000000BCA0: 7EBA0280
	s_mul_i32 s60, s93, s71                                    // 00000000BCA4: 923C475D
	v_add_u32_e64 v94, v44, s60                                // 00000000BCA8: D134005E 0000792C
	v_mov_b32_e32 v95, 0                                       // 00000000BCB0: 7EBE0280
	ds_write_b64 v3, v[192:193] offset:18432                   // 00000000BCB4: D89A4800 0000C003
	ds_write_b64 v3, v[194:195] offset:27136                   // 00000000BCBC: D89A6A00 0000C203
	ds_write_b64 v3, v[196:197] offset:20608                   // 00000000BCC4: D89A5080 0000C403
	ds_write_b64 v3, v[198:199] offset:29312                   // 00000000BCCC: D89A7280 0000C603
	ds_write_b64 v3, v[200:201] offset:22784                   // 00000000BCD4: D89A5900 0000C803
	ds_write_b64 v3, v[202:203] offset:31488                   // 00000000BCDC: D89A7B00 0000CA03
	ds_write_b64 v3, v[204:205] offset:24960                   // 00000000BCE4: D89A6180 0000CC03
	ds_write_b64 v3, v[206:207] offset:33664                   // 00000000BCEC: D89A8380 0000CE03
	s_mov_b32 s80, 0                                           // 00000000BCF4: BED00080
	s_waitcnt vmcnt(0) expcnt(0) lgkmcnt(0)                    // 00000000BCF8: BF8C0000

000000000000bcfc <label_23BF>:
	s_waitcnt vmcnt(41) lgkmcnt(0)                             // 00000000BCFC: BF8C8079
	s_barrier                                                  // 00000000BD00: BF8A0000
	v_mfma_i32_16x16x32_i8 v[192:195], a[0:1], v[128:129], 0   // 00000000BD04: D3D700C0 0A030100
	buffer_load_dwordx4 a[128:131], v48, s[12:15], 0 offen     // 00000000BD0C: E05C1000 80838030
	v_mfma_i32_16x16x32_i8 v[192:195], a[2:3], v[130:131], v[192:195]// 00000000BD14: D3D700C0 0F030502
	ds_read_b32 v64, v4 offset:18432                           // 00000000BD1C: D86C4800 40000004
	ds_read_b32 v65, v4 offset:22784                           // 00000000BD24: D86C5900 41000004
	v_mfma_i32_16x16x32_i8 v[192:195], a[4:5], v[132:133], v[192:195]// 00000000BD2C: D3D700C0 0F030904
	v_mfma_i32_16x16x32_i8 v[192:195], a[6:7], v[134:135], v[192:195]// 00000000BD34: D3D700C0 0F030D06
	ds_read_b32 v66, v4 offset:18464                           // 00000000BD3C: D86C4820 42000004
	ds_read_b32 v67, v4 offset:22816                           // 00000000BD44: D86C5920 43000004
	v_mfma_i32_16x16x32_i8 v[192:195], a[8:9], v[136:137], v[192:195]// 00000000BD4C: D3D700C0 0F031108
	buffer_load_dwordx4 a[132:135], v48, s[12:15], 0 offen offset:1024// 00000000BD54: E05C1400 80838430
	v_mfma_i32_16x16x32_i8 v[192:195], a[10:11], v[138:139], v[192:195]// 00000000BD5C: D3D700C0 0F03150A
	ds_read_b32 v68, v4 offset:18496                           // 00000000BD64: D86C4840 44000004
	ds_read_b32 v69, v4 offset:22848                           // 00000000BD6C: D86C5940 45000004
	v_mfma_i32_16x16x32_i8 v[192:195], a[12:13], v[140:141], v[192:195]// 00000000BD74: D3D700C0 0F03190C
	v_mfma_i32_16x16x32_i8 v[192:195], a[14:15], v[142:143], v[192:195]// 00000000BD7C: D3D700C0 0F031D0E
	ds_read_b32 v70, v4 offset:18528                           // 00000000BD84: D86C4860 46000004
	ds_read_b32 v71, v4 offset:22880                           // 00000000BD8C: D86C5960 47000004
	v_mfma_i32_16x16x32_i8 v[196:199], a[0:1], v[160:161], 0   // 00000000BD94: D3D700C4 0A034100
	buffer_load_dwordx4 a[136:139], v48, s[12:15], 0 offen offset:2048// 00000000BD9C: E05C1800 80838830
	v_mfma_i32_16x16x32_i8 v[196:199], a[2:3], v[162:163], v[196:199]// 00000000BDA4: D3D700C4 0F134502
	ds_read_b32 v72, v4 offset:27136                           // 00000000BDAC: D86C6A00 48000004
	ds_read_b32 v73, v4 offset:31488                           // 00000000BDB4: D86C7B00 49000004
	v_mfma_i32_16x16x32_i8 v[196:199], a[4:5], v[164:165], v[196:199]// 00000000BDBC: D3D700C4 0F134904
	v_mfma_i32_16x16x32_i8 v[196:199], a[6:7], v[166:167], v[196:199]// 00000000BDC4: D3D700C4 0F134D06
	ds_read_b32 v74, v4 offset:27168                           // 00000000BDCC: D86C6A20 4A000004
	ds_read_b32 v75, v4 offset:31520                           // 00000000BDD4: D86C7B20 4B000004
	v_mfma_i32_16x16x32_i8 v[196:199], a[8:9], v[168:169], v[196:199]// 00000000BDDC: D3D700C4 0F135108
	buffer_load_dwordx4 a[140:143], v48, s[12:15], 0 offen offset:3072// 00000000BDE4: E05C1C00 80838C30
	v_mfma_i32_16x16x32_i8 v[196:199], a[10:11], v[170:171], v[196:199]// 00000000BDEC: D3D700C4 0F13550A
	ds_read_b32 v76, v4 offset:27200                           // 00000000BDF4: D86C6A40 4C000004
	ds_read_b32 v77, v4 offset:31552                           // 00000000BDFC: D86C7B40 4D000004
	v_mfma_i32_16x16x32_i8 v[196:199], a[12:13], v[172:173], v[196:199]// 00000000BE04: D3D700C4 0F13590C
	v_mfma_i32_16x16x32_i8 v[196:199], a[14:15], v[174:175], v[196:199]// 00000000BE0C: D3D700C4 0F135D0E
	ds_read_b32 v78, v4 offset:27232                           // 00000000BE14: D86C6A60 4E000004
	ds_read_b32 v79, v4 offset:31584                           // 00000000BE1C: D86C7B60 4F000004
	v_mfma_i32_16x16x32_i8 v[200:203], a[16:17], v[128:129], 0 // 00000000BE24: D3D700C8 0A030110
	buffer_load_dwordx4 a[144:147], v49, s[12:15], 0 offen     // 00000000BE2C: E05C1000 80839031
	v_mfma_i32_16x16x32_i8 v[200:203], a[18:19], v[130:131], v[200:203]// 00000000BE34: D3D700C8 0F230512
	v_mfma_i32_16x16x32_i8 v[200:203], a[20:21], v[132:133], v[200:203]// 00000000BE3C: D3D700C8 0F230914
	v_mfma_i32_16x16x32_i8 v[200:203], a[22:23], v[134:135], v[200:203]// 00000000BE44: D3D700C8 0F230D16
	v_mfma_i32_16x16x32_i8 v[200:203], a[24:25], v[136:137], v[200:203]// 00000000BE4C: D3D700C8 0F231118
	buffer_load_dwordx4 a[148:151], v49, s[12:15], 0 offen offset:1024// 00000000BE54: E05C1400 80839431
	v_mfma_i32_16x16x32_i8 v[200:203], a[26:27], v[138:139], v[200:203]// 00000000BE5C: D3D700C8 0F23151A
	v_mfma_i32_16x16x32_i8 v[200:203], a[28:29], v[140:141], v[200:203]// 00000000BE64: D3D700C8 0F23191C
	v_mfma_i32_16x16x32_i8 v[200:203], a[30:31], v[142:143], v[200:203]// 00000000BE6C: D3D700C8 0F231D1E
	v_mfma_i32_16x16x32_i8 v[204:207], a[16:17], v[160:161], 0 // 00000000BE74: D3D700CC 0A034110
	buffer_load_dwordx4 a[152:155], v49, s[12:15], 0 offen offset:2048// 00000000BE7C: E05C1800 80839831
	v_mfma_i32_16x16x32_i8 v[204:207], a[18:19], v[162:163], v[204:207]// 00000000BE84: D3D700CC 0F334512
	v_mfma_i32_16x16x32_i8 v[204:207], a[20:21], v[164:165], v[204:207]// 00000000BE8C: D3D700CC 0F334914
	v_mfma_i32_16x16x32_i8 v[204:207], a[22:23], v[166:167], v[204:207]// 00000000BE94: D3D700CC 0F334D16
	v_mfma_i32_16x16x32_i8 v[204:207], a[24:25], v[168:169], v[204:207]// 00000000BE9C: D3D700CC 0F335118
	buffer_load_dwordx4 a[156:159], v49, s[12:15], 0 offen offset:3072// 00000000BEA4: E05C1C00 80839C31
	v_mfma_i32_16x16x32_i8 v[204:207], a[26:27], v[170:171], v[204:207]// 00000000BEAC: D3D700CC 0F33551A
	v_mfma_i32_16x16x32_i8 v[204:207], a[28:29], v[172:173], v[204:207]// 00000000BEB4: D3D700CC 0F33591C
	v_mfma_i32_16x16x32_i8 v[204:207], a[30:31], v[174:175], v[204:207]// 00000000BEBC: D3D700CC 0F335D1E
	s_waitcnt vmcnt(41)                                        // 00000000BEC4: BF8C8F79
	v_mfma_i32_16x16x32_i8 v[208:211], a[32:33], v[128:129], 0 // 00000000BEC8: D3D700D0 0A030120
	buffer_load_dwordx4 a[160:163], v50, s[12:15], 0 offen     // 00000000BED0: E05C1000 8083A032
	v_mfma_i32_16x16x32_i8 v[208:211], a[34:35], v[130:131], v[208:211]// 00000000BED8: D3D700D0 0F430522
	v_mfma_i32_16x16x32_i8 v[208:211], a[36:37], v[132:133], v[208:211]// 00000000BEE0: D3D700D0 0F430924
	v_mfma_i32_16x16x32_i8 v[208:211], a[38:39], v[134:135], v[208:211]// 00000000BEE8: D3D700D0 0F430D26
	v_mfma_i32_16x16x32_i8 v[208:211], a[40:41], v[136:137], v[208:211]// 00000000BEF0: D3D700D0 0F431128
	buffer_load_dwordx4 a[164:167], v50, s[12:15], 0 offen offset:1024// 00000000BEF8: E05C1400 8083A432
	v_mfma_i32_16x16x32_i8 v[208:211], a[42:43], v[138:139], v[208:211]// 00000000BF00: D3D700D0 0F43152A
	v_mfma_i32_16x16x32_i8 v[208:211], a[44:45], v[140:141], v[208:211]// 00000000BF08: D3D700D0 0F43192C
	v_mfma_i32_16x16x32_i8 v[208:211], a[46:47], v[142:143], v[208:211]// 00000000BF10: D3D700D0 0F431D2E
	v_mfma_i32_16x16x32_i8 v[212:215], a[32:33], v[160:161], 0 // 00000000BF18: D3D700D4 0A034120
	buffer_load_dwordx4 a[168:171], v50, s[12:15], 0 offen offset:2048// 00000000BF20: E05C1800 8083A832
	v_mfma_i32_16x16x32_i8 v[212:215], a[34:35], v[162:163], v[212:215]// 00000000BF28: D3D700D4 0F534522
	v_mfma_i32_16x16x32_i8 v[212:215], a[36:37], v[164:165], v[212:215]// 00000000BF30: D3D700D4 0F534924
	v_mfma_i32_16x16x32_i8 v[212:215], a[38:39], v[166:167], v[212:215]// 00000000BF38: D3D700D4 0F534D26
	v_mfma_i32_16x16x32_i8 v[212:215], a[40:41], v[168:169], v[212:215]// 00000000BF40: D3D700D4 0F535128
	buffer_load_dwordx4 a[172:175], v50, s[12:15], 0 offen offset:3072// 00000000BF48: E05C1C00 8083AC32
	v_mfma_i32_16x16x32_i8 v[212:215], a[42:43], v[170:171], v[212:215]// 00000000BF50: D3D700D4 0F53552A
	v_mfma_i32_16x16x32_i8 v[212:215], a[44:45], v[172:173], v[212:215]// 00000000BF58: D3D700D4 0F53592C
	v_mfma_i32_16x16x32_i8 v[212:215], a[46:47], v[174:175], v[212:215]// 00000000BF60: D3D700D4 0F535D2E
	v_mfma_i32_16x16x32_i8 v[216:219], a[48:49], v[128:129], 0 // 00000000BF68: D3D700D8 0A030130
	buffer_load_dwordx4 a[176:179], v51, s[12:15], 0 offen     // 00000000BF70: E05C1000 8083B033
	v_mfma_i32_16x16x32_i8 v[216:219], a[50:51], v[130:131], v[216:219]// 00000000BF78: D3D700D8 0F630532
	v_mfma_i32_16x16x32_i8 v[216:219], a[52:53], v[132:133], v[216:219]// 00000000BF80: D3D700D8 0F630934
	v_mfma_i32_16x16x32_i8 v[216:219], a[54:55], v[134:135], v[216:219]// 00000000BF88: D3D700D8 0F630D36
	v_mfma_i32_16x16x32_i8 v[216:219], a[56:57], v[136:137], v[216:219]// 00000000BF90: D3D700D8 0F631138
	buffer_load_dwordx4 a[180:183], v51, s[12:15], 0 offen offset:1024// 00000000BF98: E05C1400 8083B433
	v_mfma_i32_16x16x32_i8 v[216:219], a[58:59], v[138:139], v[216:219]// 00000000BFA0: D3D700D8 0F63153A
	v_mfma_i32_16x16x32_i8 v[216:219], a[60:61], v[140:141], v[216:219]// 00000000BFA8: D3D700D8 0F63193C
	v_mfma_i32_16x16x32_i8 v[216:219], a[62:63], v[142:143], v[216:219]// 00000000BFB0: D3D700D8 0F631D3E
	v_mfma_i32_16x16x32_i8 v[220:223], a[48:49], v[160:161], 0 // 00000000BFB8: D3D700DC 0A034130
	buffer_load_dwordx4 a[184:187], v51, s[12:15], 0 offen offset:2048// 00000000BFC0: E05C1800 8083B833
	v_mfma_i32_16x16x32_i8 v[220:223], a[50:51], v[162:163], v[220:223]// 00000000BFC8: D3D700DC 0F734532
	v_mfma_i32_16x16x32_i8 v[220:223], a[52:53], v[164:165], v[220:223]// 00000000BFD0: D3D700DC 0F734934
	v_mfma_i32_16x16x32_i8 v[220:223], a[54:55], v[166:167], v[220:223]// 00000000BFD8: D3D700DC 0F734D36
	v_mfma_i32_16x16x32_i8 v[220:223], a[56:57], v[168:169], v[220:223]// 00000000BFE0: D3D700DC 0F735138
	buffer_load_dwordx4 a[188:191], v51, s[12:15], 0 offen offset:3072// 00000000BFE8: E05C1C00 8083BC33
	s_add_u32 s12, s78, s12                                    // 00000000BFF0: 800C0C4E
	s_addc_u32 s13, 0, s13                                     // 00000000BFF4: 820D0D80
	v_mfma_i32_16x16x32_i8 v[220:223], a[58:59], v[170:171], v[220:223]// 00000000BFF8: D3D700DC 0F73553A
	v_mfma_i32_16x16x32_i8 v[220:223], a[60:61], v[172:173], v[220:223]// 00000000C000: D3D700DC 0F73593C
	v_mfma_i32_16x16x32_i8 v[220:223], a[62:63], v[174:175], v[220:223]// 00000000C008: D3D700DC 0F735D3E
	s_waitcnt vmcnt(41)                                        // 00000000C010: BF8C8F79
	v_mfma_i32_16x16x32_i8 v[192:195], a[64:65], v[144:145], v[192:195]// 00000000C014: D3D700C0 0F032140
	buffer_load_dwordx4 a[192:195], v48, s[12:15], 0 offen     // 00000000C01C: E05C1000 8083C030
	v_mfma_i32_16x16x32_i8 v[192:195], a[66:67], v[146:147], v[192:195]// 00000000C024: D3D700C0 0F032542
	ds_write_b64 v3, v[224:225] offset:35840                   // 00000000C02C: D89A8C00 0000E003
	v_mfma_i32_16x16x32_i8 v[192:195], a[68:69], v[148:149], v[192:195]// 00000000C034: D3D700C0 0F032944
	v_mfma_i32_16x16x32_i8 v[192:195], a[70:71], v[150:151], v[192:195]// 00000000C03C: D3D700C0 0F032D46
	ds_write_b64 v3, v[226:227] offset:44544                   // 00000000C044: D89AAE00 0000E203
	v_mfma_i32_16x16x32_i8 v[192:195], a[72:73], v[152:153], v[192:195]// 00000000C04C: D3D700C0 0F033148
	buffer_load_dwordx4 a[196:199], v48, s[12:15], 0 offen offset:1024// 00000000C054: E05C1400 8083C430
	v_mfma_i32_16x16x32_i8 v[192:195], a[74:75], v[154:155], v[192:195]// 00000000C05C: D3D700C0 0F03354A
	ds_write_b64 v3, v[228:229] offset:38016                   // 00000000C064: D89A9480 0000E403
	v_mfma_i32_16x16x32_i8 v[192:195], a[76:77], v[156:157], v[192:195]// 00000000C06C: D3D700C0 0F03394C
	v_mfma_i32_16x16x32_i8 v[192:195], a[78:79], v[158:159], v[192:195]// 00000000C074: D3D700C0 0F033D4E
	ds_write_b64 v3, v[230:231] offset:46720                   // 00000000C07C: D89AB680 0000E603
	v_mfma_i32_16x16x32_i8 v[196:199], a[64:65], v[176:177], v[196:199]// 00000000C084: D3D700C4 0F136140
	buffer_load_dwordx4 a[200:203], v48, s[12:15], 0 offen offset:2048// 00000000C08C: E05C1800 8083C830
	v_mfma_i32_16x16x32_i8 v[196:199], a[66:67], v[178:179], v[196:199]// 00000000C094: D3D700C4 0F136542
	ds_write_b64 v3, v[232:233] offset:40192                   // 00000000C09C: D89A9D00 0000E803
	v_mfma_i32_16x16x32_i8 v[196:199], a[68:69], v[180:181], v[196:199]// 00000000C0A4: D3D700C4 0F136944
	v_mfma_i32_16x16x32_i8 v[196:199], a[70:71], v[182:183], v[196:199]// 00000000C0AC: D3D700C4 0F136D46
	ds_write_b64 v3, v[234:235] offset:48896                   // 00000000C0B4: D89ABF00 0000EA03
	v_mfma_i32_16x16x32_i8 v[196:199], a[72:73], v[184:185], v[196:199]// 00000000C0BC: D3D700C4 0F137148
	buffer_load_dwordx4 a[204:207], v48, s[12:15], 0 offen offset:3072// 00000000C0C4: E05C1C00 8083CC30
	v_mfma_i32_16x16x32_i8 v[196:199], a[74:75], v[186:187], v[196:199]// 00000000C0CC: D3D700C4 0F13754A
	ds_write_b64 v3, v[236:237] offset:42368                   // 00000000C0D4: D89AA580 0000EC03
	v_mfma_i32_16x16x32_i8 v[196:199], a[76:77], v[188:189], v[196:199]// 00000000C0DC: D3D700C4 0F13794C
	v_mfma_i32_16x16x32_i8 v[196:199], a[78:79], v[190:191], v[196:199]// 00000000C0E4: D3D700C4 0F137D4E
	ds_write_b64 v3, v[238:239] offset:51072                   // 00000000C0EC: D89AC780 0000EE03
	v_mfma_i32_16x16x32_i8 v[200:203], a[80:81], v[144:145], v[200:203]// 00000000C0F4: D3D700C8 0F232150
	buffer_load_dwordx4 a[208:211], v49, s[12:15], 0 offen     // 00000000C0FC: E05C1000 8083D031
	v_mfma_i32_16x16x32_i8 v[200:203], a[82:83], v[146:147], v[200:203]// 00000000C104: D3D700C8 0F232552
	v_mfma_i32_16x16x32_i8 v[200:203], a[84:85], v[148:149], v[200:203]// 00000000C10C: D3D700C8 0F232954
	v_mfma_i32_16x16x32_i8 v[200:203], a[86:87], v[150:151], v[200:203]// 00000000C114: D3D700C8 0F232D56
	v_mfma_i32_16x16x32_i8 v[200:203], a[88:89], v[152:153], v[200:203]// 00000000C11C: D3D700C8 0F233158
	buffer_load_dwordx4 a[212:215], v49, s[12:15], 0 offen offset:1024// 00000000C124: E05C1400 8083D431
	v_mfma_i32_16x16x32_i8 v[200:203], a[90:91], v[154:155], v[200:203]// 00000000C12C: D3D700C8 0F23355A
	v_mfma_i32_16x16x32_i8 v[200:203], a[92:93], v[156:157], v[200:203]// 00000000C134: D3D700C8 0F23395C
	v_mfma_i32_16x16x32_i8 v[200:203], a[94:95], v[158:159], v[200:203]// 00000000C13C: D3D700C8 0F233D5E
	v_mfma_i32_16x16x32_i8 v[204:207], a[80:81], v[176:177], v[204:207]// 00000000C144: D3D700CC 0F336150
	buffer_load_dwordx4 a[216:219], v49, s[12:15], 0 offen offset:2048// 00000000C14C: E05C1800 8083D831
	v_mfma_i32_16x16x32_i8 v[204:207], a[82:83], v[178:179], v[204:207]// 00000000C154: D3D700CC 0F336552
	v_mfma_i32_16x16x32_i8 v[204:207], a[84:85], v[180:181], v[204:207]// 00000000C15C: D3D700CC 0F336954
	v_mfma_i32_16x16x32_i8 v[204:207], a[86:87], v[182:183], v[204:207]// 00000000C164: D3D700CC 0F336D56
	v_mfma_i32_16x16x32_i8 v[204:207], a[88:89], v[184:185], v[204:207]// 00000000C16C: D3D700CC 0F337158
	buffer_load_dwordx4 a[220:223], v49, s[12:15], 0 offen offset:3072// 00000000C174: E05C1C00 8083DC31
	v_mfma_i32_16x16x32_i8 v[204:207], a[90:91], v[186:187], v[204:207]// 00000000C17C: D3D700CC 0F33755A
	v_mfma_i32_16x16x32_i8 v[204:207], a[92:93], v[188:189], v[204:207]// 00000000C184: D3D700CC 0F33795C
	v_mfma_i32_16x16x32_i8 v[204:207], a[94:95], v[190:191], v[204:207]// 00000000C18C: D3D700CC 0F337D5E
	s_waitcnt vmcnt(40)                                        // 00000000C194: BF8C8F78
	v_mfma_i32_16x16x32_i8 v[208:211], a[96:97], v[144:145], v[208:211]// 00000000C198: D3D700D0 0F432160
	buffer_load_dwordx4 a[224:227], v50, s[12:15], 0 offen     // 00000000C1A0: E05C1000 8083E032
	v_mfma_i32_16x16x32_i8 v[208:211], a[98:99], v[146:147], v[208:211]// 00000000C1A8: D3D700D0 0F432562
	v_mfma_i32_16x16x32_i8 v[208:211], a[100:101], v[148:149], v[208:211]// 00000000C1B0: D3D700D0 0F432964
	buffer_load_dword v13, v5, s[16:19], 0 offen               // 00000000C1B8: E0501000 80040D05
	v_mfma_i32_16x16x32_i8 v[208:211], a[102:103], v[150:151], v[208:211]// 00000000C1C0: D3D700D0 0F432D66
	v_mfma_i32_16x16x32_i8 v[208:211], a[104:105], v[152:153], v[208:211]// 00000000C1C8: D3D700D0 0F433168
	buffer_load_dwordx4 a[228:231], v50, s[12:15], 0 offen offset:1024// 00000000C1D0: E05C1400 8083E432
	v_mfma_i32_16x16x32_i8 v[208:211], a[106:107], v[154:155], v[208:211]// 00000000C1D8: D3D700D0 0F43356A
	v_mfma_i32_16x16x32_i8 v[208:211], a[108:109], v[156:157], v[208:211]// 00000000C1E0: D3D700D0 0F43396C
	v_mfma_i32_16x16x32_i8 v[208:211], a[110:111], v[158:159], v[208:211]// 00000000C1E8: D3D700D0 0F433D6E
	v_mfma_i32_16x16x32_i8 v[212:215], a[96:97], v[176:177], v[212:215]// 00000000C1F0: D3D700D4 0F536160
	buffer_load_dwordx4 a[232:235], v50, s[12:15], 0 offen offset:2048// 00000000C1F8: E05C1800 8083E832
	v_mfma_i32_16x16x32_i8 v[212:215], a[98:99], v[178:179], v[212:215]// 00000000C200: D3D700D4 0F536562
	v_mfma_i32_16x16x32_i8 v[212:215], a[100:101], v[180:181], v[212:215]// 00000000C208: D3D700D4 0F536964
	s_add_u32 s60, 0x200, s80                                  // 00000000C210: 803C50FF 00000200
	s_cmp_lt_u32 s60, s81                                      // 00000000C218: BF0A513C
	v_mfma_i32_16x16x32_i8 v[212:215], a[102:103], v[182:183], v[212:215]// 00000000C21C: D3D700D4 0F536D66
	s_cselect_b32 s56, s56, 0                                  // 00000000C224: 85388038
	s_cselect_b32 s78, s78, 0                                  // 00000000C228: 854E804E
	s_cselect_b32 s79, s79, 0                                  // 00000000C22C: 854F804F
	v_mfma_i32_16x16x32_i8 v[212:215], a[104:105], v[184:185], v[212:215]// 00000000C230: D3D700D4 0F537168
	buffer_load_dwordx4 a[236:239], v50, s[12:15], 0 offen offset:3072// 00000000C238: E05C1C00 8083EC32
	v_mfma_i32_16x16x32_i8 v[212:215], a[106:107], v[186:187], v[212:215]// 00000000C240: D3D700D4 0F53756A
	v_mfma_i32_16x16x32_i8 v[212:215], a[108:109], v[188:189], v[212:215]// 00000000C248: D3D700D4 0F53796C
	s_add_u32 s16, s79, s16                                    // 00000000C250: 8010104F
	s_addc_u32 s17, 0, s17                                     // 00000000C254: 82111180
	v_mfma_i32_16x16x32_i8 v[212:215], a[110:111], v[190:191], v[212:215]// 00000000C258: D3D700D4 0F537D6E
	v_mfma_i32_16x16x32_i8 v[216:219], a[112:113], v[144:145], v[216:219]// 00000000C260: D3D700D8 0F632170
	buffer_load_dwordx4 a[240:243], v51, s[12:15], 0 offen     // 00000000C268: E05C1000 8083F033
	v_mfma_i32_16x16x32_i8 v[216:219], a[114:115], v[146:147], v[216:219]// 00000000C270: D3D700D8 0F632572
	v_mfma_i32_16x16x32_i8 v[216:219], a[116:117], v[148:149], v[216:219]// 00000000C278: D3D700D8 0F632974
	v_mfma_i32_16x16x32_i8 v[216:219], a[118:119], v[150:151], v[216:219]// 00000000C280: D3D700D8 0F632D76
	v_mfma_i32_16x16x32_i8 v[216:219], a[120:121], v[152:153], v[216:219]// 00000000C288: D3D700D8 0F633178
	buffer_load_dwordx4 a[244:247], v51, s[12:15], 0 offen offset:1024// 00000000C290: E05C1400 8083F433
	v_mfma_i32_16x16x32_i8 v[216:219], a[122:123], v[154:155], v[216:219]// 00000000C298: D3D700D8 0F63357A
	v_mfma_i32_16x16x32_i8 v[216:219], a[124:125], v[156:157], v[216:219]// 00000000C2A0: D3D700D8 0F63397C
	v_mfma_i32_16x16x32_i8 v[216:219], a[126:127], v[158:159], v[216:219]// 00000000C2A8: D3D700D8 0F633D7E
	v_mfma_i32_16x16x32_i8 v[220:223], a[112:113], v[176:177], v[220:223]// 00000000C2B0: D3D700DC 0F736170
	buffer_load_dwordx4 a[248:251], v51, s[12:15], 0 offen offset:2048// 00000000C2B8: E05C1800 8083F833
	v_mfma_i32_16x16x32_i8 v[220:223], a[114:115], v[178:179], v[220:223]// 00000000C2C0: D3D700DC 0F736572
	v_mfma_i32_16x16x32_i8 v[220:223], a[116:117], v[180:181], v[220:223]// 00000000C2C8: D3D700DC 0F736974
	v_mfma_i32_16x16x32_i8 v[220:223], a[118:119], v[182:183], v[220:223]// 00000000C2D0: D3D700DC 0F736D76
	v_mfma_i32_16x16x32_i8 v[220:223], a[120:121], v[184:185], v[220:223]// 00000000C2D8: D3D700DC 0F737178
	buffer_load_dwordx4 a[252:255], v51, s[12:15], 0 offen offset:3072// 00000000C2E0: E05C1C00 8083FC33
	v_mfma_i32_16x16x32_i8 v[220:223], a[122:123], v[186:187], v[220:223]// 00000000C2E8: D3D700DC 0F73757A
	v_mfma_i32_16x16x32_i8 v[220:223], a[124:125], v[188:189], v[220:223]// 00000000C2F0: D3D700DC 0F73797C
	s_add_u32 s12, s56, s12                                    // 00000000C2F8: 800C0C38
	s_addc_u32 s13, 0, s13                                     // 00000000C2FC: 820D0D80
	v_mfma_i32_16x16x32_i8 v[220:223], a[126:127], v[190:191], v[220:223]// 00000000C300: D3D700DC 0F737D7E
	v_mov_b32_e32 v96, v24                                     // 00000000C308: 7EC00318
	v_mov_b32_e32 v100, v20                                    // 00000000C30C: 7EC80314
	v_mov_b32_e32 v97, v24                                     // 00000000C310: 7EC20318
	v_mov_b32_e32 v101, v20                                    // 00000000C314: 7ECA0314
	v_mov_b32_e32 v98, v25                                     // 00000000C318: 7EC40319
	v_mov_b32_e32 v102, v21                                    // 00000000C31C: 7ECC0315
	v_mov_b32_e32 v99, v25                                     // 00000000C320: 7EC60319
	v_mov_b32_e32 v103, v21                                    // 00000000C324: 7ECE0315
	v_cvt_f32_i32_e32 v192, v192                               // 00000000C328: 7F800BC0
	v_cvt_f32_i32_e32 v193, v193                               // 00000000C32C: 7F820BC1
	v_cvt_f32_i32_e32 v194, v194                               // 00000000C330: 7F840BC2
	v_cvt_f32_i32_e32 v195, v195                               // 00000000C334: 7F860BC3
	v_pk_mul_f32 v[192:193], v[96:97], v[192:193]              // 00000000C338: D3B140C0 18038160
	v_pk_mul_f32 v[194:195], v[96:97], v[194:195]              // 00000000C340: D3B140C2 18038560
	v_mul_f32_dpp v192, v12, v192 row_newbcast:0 row_mask:0xf bank_mask:0xf// 00000000C348: 0B8180FA FF01500C
	v_mul_f32_dpp v193, v12, v193 row_newbcast:1 row_mask:0xf bank_mask:0xf// 00000000C350: 0B8382FA FF01510C
	v_mul_f32_dpp v194, v12, v194 row_newbcast:2 row_mask:0xf bank_mask:0xf// 00000000C358: 0B8584FA FF01520C
	v_mul_f32_dpp v195, v12, v195 row_newbcast:3 row_mask:0xf bank_mask:0xf// 00000000C360: 0B8786FA FF01530C
	v_pk_mul_f32 v[192:193], v[100:101], v[192:193]            // 00000000C368: D3B140C0 18038164
	v_pk_mul_f32 v[194:195], v[100:101], v[194:195]            // 00000000C370: D3B140C2 18038564
	v_cvt_f32_i32_e32 v196, v196                               // 00000000C378: 7F880BC4
	v_cvt_f32_i32_e32 v197, v197                               // 00000000C37C: 7F8A0BC5
	v_cvt_f32_i32_e32 v198, v198                               // 00000000C380: 7F8C0BC6
	v_cvt_f32_i32_e32 v199, v199                               // 00000000C384: 7F8E0BC7
	v_pk_mul_f32 v[196:197], v[98:99], v[196:197]              // 00000000C388: D3B140C4 18038962
	v_pk_mul_f32 v[198:199], v[98:99], v[198:199]              // 00000000C390: D3B140C6 18038D62
	v_mul_f32_dpp v196, v12, v196 row_newbcast:0 row_mask:0xf bank_mask:0xf// 00000000C398: 0B8988FA FF01500C
	v_mul_f32_dpp v197, v12, v197 row_newbcast:1 row_mask:0xf bank_mask:0xf// 00000000C3A0: 0B8B8AFA FF01510C
	v_mul_f32_dpp v198, v12, v198 row_newbcast:2 row_mask:0xf bank_mask:0xf// 00000000C3A8: 0B8D8CFA FF01520C
	v_mul_f32_dpp v199, v12, v199 row_newbcast:3 row_mask:0xf bank_mask:0xf// 00000000C3B0: 0B8F8EFA FF01530C
	v_pk_mul_f32 v[196:197], v[102:103], v[196:197]            // 00000000C3B8: D3B140C4 18038966
	v_pk_mul_f32 v[198:199], v[102:103], v[198:199]            // 00000000C3C0: D3B140C6 18038D66
	v_cvt_f32_i32_e32 v200, v200                               // 00000000C3C8: 7F900BC8
	v_cvt_f32_i32_e32 v201, v201                               // 00000000C3CC: 7F920BC9
	v_cvt_f32_i32_e32 v202, v202                               // 00000000C3D0: 7F940BCA
	v_cvt_f32_i32_e32 v203, v203                               // 00000000C3D4: 7F960BCB
	v_pk_mul_f32 v[200:201], v[96:97], v[200:201]              // 00000000C3D8: D3B140C8 18039160
	v_pk_mul_f32 v[202:203], v[96:97], v[202:203]              // 00000000C3E0: D3B140CA 18039560
	v_mul_f32_dpp v200, v12, v200 row_newbcast:4 row_mask:0xf bank_mask:0xf// 00000000C3E8: 0B9190FA FF01540C
	v_mul_f32_dpp v201, v12, v201 row_newbcast:5 row_mask:0xf bank_mask:0xf// 00000000C3F0: 0B9392FA FF01550C
	v_mul_f32_dpp v202, v12, v202 row_newbcast:6 row_mask:0xf bank_mask:0xf// 00000000C3F8: 0B9594FA FF01560C
	v_mul_f32_dpp v203, v12, v203 row_newbcast:7 row_mask:0xf bank_mask:0xf// 00000000C400: 0B9796FA FF01570C
	v_pk_mul_f32 v[200:201], v[100:101], v[200:201]            // 00000000C408: D3B140C8 18039164
	v_pk_mul_f32 v[202:203], v[100:101], v[202:203]            // 00000000C410: D3B140CA 18039564
	v_cvt_f32_i32_e32 v204, v204                               // 00000000C418: 7F980BCC
	v_cvt_f32_i32_e32 v205, v205                               // 00000000C41C: 7F9A0BCD
	v_cvt_f32_i32_e32 v206, v206                               // 00000000C420: 7F9C0BCE
	v_cvt_f32_i32_e32 v207, v207                               // 00000000C424: 7F9E0BCF
	v_pk_mul_f32 v[204:205], v[98:99], v[204:205]              // 00000000C428: D3B140CC 18039962
	v_pk_mul_f32 v[206:207], v[98:99], v[206:207]              // 00000000C430: D3B140CE 18039D62
	v_mul_f32_dpp v204, v12, v204 row_newbcast:4 row_mask:0xf bank_mask:0xf// 00000000C438: 0B9998FA FF01540C
	v_mul_f32_dpp v205, v12, v205 row_newbcast:5 row_mask:0xf bank_mask:0xf// 00000000C440: 0B9B9AFA FF01550C
	v_mul_f32_dpp v206, v12, v206 row_newbcast:6 row_mask:0xf bank_mask:0xf// 00000000C448: 0B9D9CFA FF01560C
	v_mul_f32_dpp v207, v12, v207 row_newbcast:7 row_mask:0xf bank_mask:0xf// 00000000C450: 0B9F9EFA FF01570C
	v_pk_mul_f32 v[204:205], v[102:103], v[204:205]            // 00000000C458: D3B140CC 18039966
	v_pk_mul_f32 v[206:207], v[102:103], v[206:207]            // 00000000C460: D3B140CE 18039D66
	v_cvt_f32_i32_e32 v208, v208                               // 00000000C468: 7FA00BD0
	v_cvt_f32_i32_e32 v209, v209                               // 00000000C46C: 7FA20BD1
	v_cvt_f32_i32_e32 v210, v210                               // 00000000C470: 7FA40BD2
	v_cvt_f32_i32_e32 v211, v211                               // 00000000C474: 7FA60BD3
	v_pk_mul_f32 v[208:209], v[96:97], v[208:209]              // 00000000C478: D3B140D0 1803A160
	v_pk_mul_f32 v[210:211], v[96:97], v[210:211]              // 00000000C480: D3B140D2 1803A560
	v_mul_f32_dpp v208, v12, v208 row_newbcast:8 row_mask:0xf bank_mask:0xf// 00000000C488: 0BA1A0FA FF01580C
	v_mul_f32_dpp v209, v12, v209 row_newbcast:9 row_mask:0xf bank_mask:0xf// 00000000C490: 0BA3A2FA FF01590C
	v_mul_f32_dpp v210, v12, v210 row_newbcast:10 row_mask:0xf bank_mask:0xf// 00000000C498: 0BA5A4FA FF015A0C
	v_mul_f32_dpp v211, v12, v211 row_newbcast:11 row_mask:0xf bank_mask:0xf// 00000000C4A0: 0BA7A6FA FF015B0C
	v_pk_mul_f32 v[208:209], v[100:101], v[208:209]            // 00000000C4A8: D3B140D0 1803A164
	v_pk_mul_f32 v[210:211], v[100:101], v[210:211]            // 00000000C4B0: D3B140D2 1803A564
	v_cvt_f32_i32_e32 v212, v212                               // 00000000C4B8: 7FA80BD4
	v_cvt_f32_i32_e32 v213, v213                               // 00000000C4BC: 7FAA0BD5
	v_cvt_f32_i32_e32 v214, v214                               // 00000000C4C0: 7FAC0BD6
	v_cvt_f32_i32_e32 v215, v215                               // 00000000C4C4: 7FAE0BD7
	v_pk_mul_f32 v[212:213], v[98:99], v[212:213]              // 00000000C4C8: D3B140D4 1803A962
	v_pk_mul_f32 v[214:215], v[98:99], v[214:215]              // 00000000C4D0: D3B140D6 1803AD62
	v_mul_f32_dpp v212, v12, v212 row_newbcast:8 row_mask:0xf bank_mask:0xf// 00000000C4D8: 0BA9A8FA FF01580C
	v_mul_f32_dpp v213, v12, v213 row_newbcast:9 row_mask:0xf bank_mask:0xf// 00000000C4E0: 0BABAAFA FF01590C
	v_mul_f32_dpp v214, v12, v214 row_newbcast:10 row_mask:0xf bank_mask:0xf// 00000000C4E8: 0BADACFA FF015A0C
	v_mul_f32_dpp v215, v12, v215 row_newbcast:11 row_mask:0xf bank_mask:0xf// 00000000C4F0: 0BAFAEFA FF015B0C
	v_pk_mul_f32 v[212:213], v[102:103], v[212:213]            // 00000000C4F8: D3B140D4 1803A966
	v_pk_mul_f32 v[214:215], v[102:103], v[214:215]            // 00000000C500: D3B140D6 1803AD66
	v_cvt_f32_i32_e32 v216, v216                               // 00000000C508: 7FB00BD8
	v_cvt_f32_i32_e32 v217, v217                               // 00000000C50C: 7FB20BD9
	v_cvt_f32_i32_e32 v218, v218                               // 00000000C510: 7FB40BDA
	v_cvt_f32_i32_e32 v219, v219                               // 00000000C514: 7FB60BDB
	v_pk_mul_f32 v[216:217], v[96:97], v[216:217]              // 00000000C518: D3B140D8 1803B160
	v_pk_mul_f32 v[218:219], v[96:97], v[218:219]              // 00000000C520: D3B140DA 1803B560
	v_mul_f32_dpp v216, v12, v216 row_newbcast:12 row_mask:0xf bank_mask:0xf// 00000000C528: 0BB1B0FA FF015C0C
	v_mul_f32_dpp v217, v12, v217 row_newbcast:13 row_mask:0xf bank_mask:0xf// 00000000C530: 0BB3B2FA FF015D0C
	v_mul_f32_dpp v218, v12, v218 row_newbcast:14 row_mask:0xf bank_mask:0xf// 00000000C538: 0BB5B4FA FF015E0C
	v_mul_f32_dpp v219, v12, v219 row_newbcast:15 row_mask:0xf bank_mask:0xf// 00000000C540: 0BB7B6FA FF015F0C
	v_pk_mul_f32 v[216:217], v[100:101], v[216:217]            // 00000000C548: D3B140D8 1803B164
	v_pk_mul_f32 v[218:219], v[100:101], v[218:219]            // 00000000C550: D3B140DA 1803B564
	v_cvt_f32_i32_e32 v220, v220                               // 00000000C558: 7FB80BDC
	v_cvt_f32_i32_e32 v221, v221                               // 00000000C55C: 7FBA0BDD
	v_cvt_f32_i32_e32 v222, v222                               // 00000000C560: 7FBC0BDE
	v_cvt_f32_i32_e32 v223, v223                               // 00000000C564: 7FBE0BDF
	v_pk_mul_f32 v[220:221], v[98:99], v[220:221]              // 00000000C568: D3B140DC 1803B962
	v_pk_mul_f32 v[222:223], v[98:99], v[222:223]              // 00000000C570: D3B140DE 1803BD62
	v_mul_f32_dpp v220, v12, v220 row_newbcast:12 row_mask:0xf bank_mask:0xf// 00000000C578: 0BB9B8FA FF015C0C
	v_mul_f32_dpp v221, v12, v221 row_newbcast:13 row_mask:0xf bank_mask:0xf// 00000000C580: 0BBBBAFA FF015D0C
	v_mul_f32_dpp v222, v12, v222 row_newbcast:14 row_mask:0xf bank_mask:0xf// 00000000C588: 0BBDBCFA FF015E0C
	v_mul_f32_dpp v223, v12, v223 row_newbcast:15 row_mask:0xf bank_mask:0xf// 00000000C590: 0BBFBEFA FF015F0C
	v_pk_mul_f32 v[220:221], v[102:103], v[220:221]            // 00000000C598: D3B140DC 1803B966
	v_pk_mul_f32 v[222:223], v[102:103], v[222:223]            // 00000000C5A0: D3B140DE 1803BD66
	v_cvt_pkrtz_f16_f32 v192, v192, v193                       // 00000000C5A8: D29600C0 000383C0
	v_cvt_pkrtz_f16_f32 v193, v194, v195                       // 00000000C5B0: D29600C1 000387C2
	v_cvt_pkrtz_f16_f32 v194, v196, v197                       // 00000000C5B8: D29600C2 00038BC4
	v_cvt_pkrtz_f16_f32 v195, v198, v199                       // 00000000C5C0: D29600C3 00038FC6
	v_cvt_pkrtz_f16_f32 v196, v200, v201                       // 00000000C5C8: D29600C4 000393C8
	v_cvt_pkrtz_f16_f32 v197, v202, v203                       // 00000000C5D0: D29600C5 000397CA
	v_cvt_pkrtz_f16_f32 v198, v204, v205                       // 00000000C5D8: D29600C6 00039BCC
	v_cvt_pkrtz_f16_f32 v199, v206, v207                       // 00000000C5E0: D29600C7 00039FCE
	v_cvt_pkrtz_f16_f32 v200, v208, v209                       // 00000000C5E8: D29600C8 0003A3D0
	v_cvt_pkrtz_f16_f32 v201, v210, v211                       // 00000000C5F0: D29600C9 0003A7D2
	v_cvt_pkrtz_f16_f32 v202, v212, v213                       // 00000000C5F8: D29600CA 0003ABD4
	v_cvt_pkrtz_f16_f32 v203, v214, v215                       // 00000000C600: D29600CB 0003AFD6
	v_cvt_pkrtz_f16_f32 v204, v216, v217                       // 00000000C608: D29600CC 0003B3D8
	v_cvt_pkrtz_f16_f32 v205, v218, v219                       // 00000000C610: D29600CD 0003B7DA
	v_cvt_pkrtz_f16_f32 v206, v220, v221                       // 00000000C618: D29600CE 0003BBDC
	v_cvt_pkrtz_f16_f32 v207, v222, v223                       // 00000000C620: D29600CF 0003BFDE
	s_mov_b64 exec, s[20:21]                                   // 00000000C628: BEFE0114
	global_atomic_pk_add_f16 v80, v64, s[8:9]                  // 00000000C62C: DD388000 00084050
	s_mov_b64 exec, s[36:37]                                   // 00000000C634: BEFE0124
	s_mov_b64 exec, s[20:21]                                   // 00000000C638: BEFE0114
	global_atomic_pk_add_f16 v80, v65, s[8:9] offset:256       // 00000000C63C: DD388100 00084150
	s_mov_b64 exec, s[36:37]                                   // 00000000C644: BEFE0124
	s_mov_b64 exec, s[22:23]                                   // 00000000C648: BEFE0116
	global_atomic_pk_add_f16 v82, v66, s[8:9]                  // 00000000C64C: DD388000 00084252
	s_mov_b64 exec, s[36:37]                                   // 00000000C654: BEFE0124
	s_mov_b64 exec, s[22:23]                                   // 00000000C658: BEFE0116
	global_atomic_pk_add_f16 v82, v67, s[8:9] offset:256       // 00000000C65C: DD388100 00084352
	s_mov_b64 exec, s[36:37]                                   // 00000000C664: BEFE0124
	s_mov_b64 exec, s[24:25]                                   // 00000000C668: BEFE0118
	global_atomic_pk_add_f16 v84, v68, s[8:9]                  // 00000000C66C: DD388000 00084454
	s_mov_b64 exec, s[36:37]                                   // 00000000C674: BEFE0124
	s_mov_b64 exec, s[24:25]                                   // 00000000C678: BEFE0118
	global_atomic_pk_add_f16 v84, v69, s[8:9] offset:256       // 00000000C67C: DD388100 00084554
	s_mov_b64 exec, s[36:37]                                   // 00000000C684: BEFE0124
	s_mov_b64 exec, s[26:27]                                   // 00000000C688: BEFE011A
	global_atomic_pk_add_f16 v86, v70, s[8:9]                  // 00000000C68C: DD388000 00084656
	s_mov_b64 exec, s[36:37]                                   // 00000000C694: BEFE0124
	s_mov_b64 exec, s[26:27]                                   // 00000000C698: BEFE011A
	global_atomic_pk_add_f16 v86, v71, s[8:9] offset:256       // 00000000C69C: DD388100 00084756
	s_mov_b64 exec, s[36:37]                                   // 00000000C6A4: BEFE0124
	s_mov_b64 exec, s[28:29]                                   // 00000000C6A8: BEFE011C
	global_atomic_pk_add_f16 v88, v72, s[8:9]                  // 00000000C6AC: DD388000 00084858
	s_mov_b64 exec, s[36:37]                                   // 00000000C6B4: BEFE0124
	s_mov_b64 exec, s[28:29]                                   // 00000000C6B8: BEFE011C
	global_atomic_pk_add_f16 v88, v73, s[8:9] offset:256       // 00000000C6BC: DD388100 00084958
	s_mov_b64 exec, s[36:37]                                   // 00000000C6C4: BEFE0124
	s_mov_b64 exec, s[30:31]                                   // 00000000C6C8: BEFE011E
	global_atomic_pk_add_f16 v90, v74, s[8:9]                  // 00000000C6CC: DD388000 00084A5A
	s_mov_b64 exec, s[36:37]                                   // 00000000C6D4: BEFE0124
	s_mov_b64 exec, s[30:31]                                   // 00000000C6D8: BEFE011E
	global_atomic_pk_add_f16 v90, v75, s[8:9] offset:256       // 00000000C6DC: DD388100 00084B5A
	s_mov_b64 exec, s[36:37]                                   // 00000000C6E4: BEFE0124
	s_mov_b64 exec, s[32:33]                                   // 00000000C6E8: BEFE0120
	global_atomic_pk_add_f16 v92, v76, s[8:9]                  // 00000000C6EC: DD388000 00084C5C
	s_mov_b64 exec, s[36:37]                                   // 00000000C6F4: BEFE0124
	s_mov_b64 exec, s[32:33]                                   // 00000000C6F8: BEFE0120
	global_atomic_pk_add_f16 v92, v77, s[8:9] offset:256       // 00000000C6FC: DD388100 00084D5C
	s_mov_b64 exec, s[36:37]                                   // 00000000C704: BEFE0124
	s_mov_b64 exec, s[34:35]                                   // 00000000C708: BEFE0122
	global_atomic_pk_add_f16 v94, v78, s[8:9]                  // 00000000C70C: DD388000 00084E5E
	s_mov_b64 exec, s[36:37]                                   // 00000000C714: BEFE0124
	s_mov_b64 exec, s[34:35]                                   // 00000000C718: BEFE0122
	global_atomic_pk_add_f16 v94, v79, s[8:9] offset:256       // 00000000C71C: DD388100 00084F5E
	s_mov_b64 exec, s[36:37]                                   // 00000000C724: BEFE0124
	s_cmp_ge_u32 s80, 0x200                                    // 00000000C728: BF09FF50 00000200
	s_cselect_b32 s59, 0x200, s59                              // 00000000C730: 853B3BFF 00000200
	s_add_u32 s8, s59, s8                                      // 00000000C738: 8008083B
	s_addc_u32 s9, 0, s9                                       // 00000000C73C: 82090980
	s_addk_i32 s80, 0x100                                      // 00000000C740: B7500100
	s_cmp_lt_i32 s80, s81                                      // 00000000C744: BF045150
	s_cbranch_scc0 label_166D                                  // 00000000C748: BF84F01A
	s_waitcnt vmcnt(41) lgkmcnt(0)                             // 00000000C74C: BF8C8079
	s_barrier                                                  // 00000000C750: BF8A0000
	v_mfma_i32_16x16x32_i8 v[224:227], a[128:129], v[128:129], 0// 00000000C754: D3D700E0 0A030180
	buffer_load_dwordx4 a[0:3], v48, s[12:15], 0 offen         // 00000000C75C: E05C1000 80830030
	v_mfma_i32_16x16x32_i8 v[224:227], a[130:131], v[130:131], v[224:227]// 00000000C764: D3D700E0 0F830582
	ds_read_b32 v64, v4 offset:35840                           // 00000000C76C: D86C8C00 40000004
	ds_read_b32 v65, v4 offset:40192                           // 00000000C774: D86C9D00 41000004
	v_mfma_i32_16x16x32_i8 v[224:227], a[132:133], v[132:133], v[224:227]// 00000000C77C: D3D700E0 0F830984
	v_mfma_i32_16x16x32_i8 v[224:227], a[134:135], v[134:135], v[224:227]// 00000000C784: D3D700E0 0F830D86
	ds_read_b32 v66, v4 offset:35872                           // 00000000C78C: D86C8C20 42000004
	ds_read_b32 v67, v4 offset:40224                           // 00000000C794: D86C9D20 43000004
	v_mfma_i32_16x16x32_i8 v[224:227], a[136:137], v[136:137], v[224:227]// 00000000C79C: D3D700E0 0F831188
	buffer_load_dwordx4 a[4:7], v48, s[12:15], 0 offen offset:1024// 00000000C7A4: E05C1400 80830430
	v_mfma_i32_16x16x32_i8 v[224:227], a[138:139], v[138:139], v[224:227]// 00000000C7AC: D3D700E0 0F83158A
	ds_read_b32 v68, v4 offset:35904                           // 00000000C7B4: D86C8C40 44000004
	ds_read_b32 v69, v4 offset:40256                           // 00000000C7BC: D86C9D40 45000004
	v_mfma_i32_16x16x32_i8 v[224:227], a[140:141], v[140:141], v[224:227]// 00000000C7C4: D3D700E0 0F83198C
	v_mfma_i32_16x16x32_i8 v[224:227], a[142:143], v[142:143], v[224:227]// 00000000C7CC: D3D700E0 0F831D8E
	ds_read_b32 v70, v4 offset:35936                           // 00000000C7D4: D86C8C60 46000004
	ds_read_b32 v71, v4 offset:40288                           // 00000000C7DC: D86C9D60 47000004
	v_mfma_i32_16x16x32_i8 v[228:231], a[128:129], v[160:161], 0// 00000000C7E4: D3D700E4 0A034180
	buffer_load_dwordx4 a[8:11], v48, s[12:15], 0 offen offset:2048// 00000000C7EC: E05C1800 80830830
	v_mfma_i32_16x16x32_i8 v[228:231], a[130:131], v[162:163], v[228:231]// 00000000C7F4: D3D700E4 0F934582
	ds_read_b32 v72, v4 offset:44544                           // 00000000C7FC: D86CAE00 48000004
	ds_read_b32 v73, v4 offset:48896                           // 00000000C804: D86CBF00 49000004
	v_mfma_i32_16x16x32_i8 v[228:231], a[132:133], v[164:165], v[228:231]// 00000000C80C: D3D700E4 0F934984
	v_mfma_i32_16x16x32_i8 v[228:231], a[134:135], v[166:167], v[228:231]// 00000000C814: D3D700E4 0F934D86
	ds_read_b32 v74, v4 offset:44576                           // 00000000C81C: D86CAE20 4A000004
	ds_read_b32 v75, v4 offset:48928                           // 00000000C824: D86CBF20 4B000004
	v_mfma_i32_16x16x32_i8 v[228:231], a[136:137], v[168:169], v[228:231]// 00000000C82C: D3D700E4 0F935188
	buffer_load_dwordx4 a[12:15], v48, s[12:15], 0 offen offset:3072// 00000000C834: E05C1C00 80830C30
	v_mfma_i32_16x16x32_i8 v[228:231], a[138:139], v[170:171], v[228:231]// 00000000C83C: D3D700E4 0F93558A
	ds_read_b32 v76, v4 offset:44608                           // 00000000C844: D86CAE40 4C000004
	ds_read_b32 v77, v4 offset:48960                           // 00000000C84C: D86CBF40 4D000004
	v_mfma_i32_16x16x32_i8 v[228:231], a[140:141], v[172:173], v[228:231]// 00000000C854: D3D700E4 0F93598C
	v_mfma_i32_16x16x32_i8 v[228:231], a[142:143], v[174:175], v[228:231]// 00000000C85C: D3D700E4 0F935D8E
	ds_read_b32 v78, v4 offset:44640                           // 00000000C864: D86CAE60 4E000004
	ds_read_b32 v79, v4 offset:48992                           // 00000000C86C: D86CBF60 4F000004
	v_mfma_i32_16x16x32_i8 v[232:235], a[144:145], v[128:129], 0// 00000000C874: D3D700E8 0A030190
	buffer_load_dwordx4 a[16:19], v49, s[12:15], 0 offen       // 00000000C87C: E05C1000 80831031
	v_mfma_i32_16x16x32_i8 v[232:235], a[146:147], v[130:131], v[232:235]// 00000000C884: D3D700E8 0FA30592
	v_mfma_i32_16x16x32_i8 v[232:235], a[148:149], v[132:133], v[232:235]// 00000000C88C: D3D700E8 0FA30994
	v_mfma_i32_16x16x32_i8 v[232:235], a[150:151], v[134:135], v[232:235]// 00000000C894: D3D700E8 0FA30D96
	v_mfma_i32_16x16x32_i8 v[232:235], a[152:153], v[136:137], v[232:235]// 00000000C89C: D3D700E8 0FA31198
	buffer_load_dwordx4 a[20:23], v49, s[12:15], 0 offen offset:1024// 00000000C8A4: E05C1400 80831431
	v_mfma_i32_16x16x32_i8 v[232:235], a[154:155], v[138:139], v[232:235]// 00000000C8AC: D3D700E8 0FA3159A
	v_mfma_i32_16x16x32_i8 v[232:235], a[156:157], v[140:141], v[232:235]// 00000000C8B4: D3D700E8 0FA3199C
	v_mfma_i32_16x16x32_i8 v[232:235], a[158:159], v[142:143], v[232:235]// 00000000C8BC: D3D700E8 0FA31D9E
	v_mfma_i32_16x16x32_i8 v[236:239], a[144:145], v[160:161], 0// 00000000C8C4: D3D700EC 0A034190
	buffer_load_dwordx4 a[24:27], v49, s[12:15], 0 offen offset:2048// 00000000C8CC: E05C1800 80831831
	v_mfma_i32_16x16x32_i8 v[236:239], a[146:147], v[162:163], v[236:239]// 00000000C8D4: D3D700EC 0FB34592
	v_mfma_i32_16x16x32_i8 v[236:239], a[148:149], v[164:165], v[236:239]// 00000000C8DC: D3D700EC 0FB34994
	v_mfma_i32_16x16x32_i8 v[236:239], a[150:151], v[166:167], v[236:239]// 00000000C8E4: D3D700EC 0FB34D96
	v_mfma_i32_16x16x32_i8 v[236:239], a[152:153], v[168:169], v[236:239]// 00000000C8EC: D3D700EC 0FB35198
	buffer_load_dwordx4 a[28:31], v49, s[12:15], 0 offen offset:3072// 00000000C8F4: E05C1C00 80831C31
	v_mfma_i32_16x16x32_i8 v[236:239], a[154:155], v[170:171], v[236:239]// 00000000C8FC: D3D700EC 0FB3559A
	v_mfma_i32_16x16x32_i8 v[236:239], a[156:157], v[172:173], v[236:239]// 00000000C904: D3D700EC 0FB3599C
	v_mfma_i32_16x16x32_i8 v[236:239], a[158:159], v[174:175], v[236:239]// 00000000C90C: D3D700EC 0FB35D9E
	s_waitcnt vmcnt(41)                                        // 00000000C914: BF8C8F79
	v_mfma_i32_16x16x32_i8 v[240:243], a[160:161], v[128:129], 0// 00000000C918: D3D700F0 0A0301A0
	buffer_load_dwordx4 a[32:35], v50, s[12:15], 0 offen       // 00000000C920: E05C1000 80832032
	v_mfma_i32_16x16x32_i8 v[240:243], a[162:163], v[130:131], v[240:243]// 00000000C928: D3D700F0 0FC305A2
	v_mfma_i32_16x16x32_i8 v[240:243], a[164:165], v[132:133], v[240:243]// 00000000C930: D3D700F0 0FC309A4
	v_mfma_i32_16x16x32_i8 v[240:243], a[166:167], v[134:135], v[240:243]// 00000000C938: D3D700F0 0FC30DA6
	v_mfma_i32_16x16x32_i8 v[240:243], a[168:169], v[136:137], v[240:243]// 00000000C940: D3D700F0 0FC311A8
	buffer_load_dwordx4 a[36:39], v50, s[12:15], 0 offen offset:1024// 00000000C948: E05C1400 80832432
	v_mfma_i32_16x16x32_i8 v[240:243], a[170:171], v[138:139], v[240:243]// 00000000C950: D3D700F0 0FC315AA
	v_mfma_i32_16x16x32_i8 v[240:243], a[172:173], v[140:141], v[240:243]// 00000000C958: D3D700F0 0FC319AC
	v_mfma_i32_16x16x32_i8 v[240:243], a[174:175], v[142:143], v[240:243]// 00000000C960: D3D700F0 0FC31DAE
	v_mfma_i32_16x16x32_i8 v[244:247], a[160:161], v[160:161], 0// 00000000C968: D3D700F4 0A0341A0
	buffer_load_dwordx4 a[40:43], v50, s[12:15], 0 offen offset:2048// 00000000C970: E05C1800 80832832
	v_mfma_i32_16x16x32_i8 v[244:247], a[162:163], v[162:163], v[244:247]// 00000000C978: D3D700F4 0FD345A2
	v_mfma_i32_16x16x32_i8 v[244:247], a[164:165], v[164:165], v[244:247]// 00000000C980: D3D700F4 0FD349A4
	v_mfma_i32_16x16x32_i8 v[244:247], a[166:167], v[166:167], v[244:247]// 00000000C988: D3D700F4 0FD34DA6
	v_mfma_i32_16x16x32_i8 v[244:247], a[168:169], v[168:169], v[244:247]// 00000000C990: D3D700F4 0FD351A8
	buffer_load_dwordx4 a[44:47], v50, s[12:15], 0 offen offset:3072// 00000000C998: E05C1C00 80832C32
	v_mfma_i32_16x16x32_i8 v[244:247], a[170:171], v[170:171], v[244:247]// 00000000C9A0: D3D700F4 0FD355AA
	v_mfma_i32_16x16x32_i8 v[244:247], a[172:173], v[172:173], v[244:247]// 00000000C9A8: D3D700F4 0FD359AC
	v_mfma_i32_16x16x32_i8 v[244:247], a[174:175], v[174:175], v[244:247]// 00000000C9B0: D3D700F4 0FD35DAE
	v_mfma_i32_16x16x32_i8 v[248:251], a[176:177], v[128:129], 0// 00000000C9B8: D3D700F8 0A0301B0
	buffer_load_dwordx4 a[48:51], v51, s[12:15], 0 offen       // 00000000C9C0: E05C1000 80833033
	v_mfma_i32_16x16x32_i8 v[248:251], a[178:179], v[130:131], v[248:251]// 00000000C9C8: D3D700F8 0FE305B2
	v_mfma_i32_16x16x32_i8 v[248:251], a[180:181], v[132:133], v[248:251]// 00000000C9D0: D3D700F8 0FE309B4
	v_mfma_i32_16x16x32_i8 v[248:251], a[182:183], v[134:135], v[248:251]// 00000000C9D8: D3D700F8 0FE30DB6
	v_mfma_i32_16x16x32_i8 v[248:251], a[184:185], v[136:137], v[248:251]// 00000000C9E0: D3D700F8 0FE311B8
	buffer_load_dwordx4 a[52:55], v51, s[12:15], 0 offen offset:1024// 00000000C9E8: E05C1400 80833433
	v_mfma_i32_16x16x32_i8 v[248:251], a[186:187], v[138:139], v[248:251]// 00000000C9F0: D3D700F8 0FE315BA
	v_mfma_i32_16x16x32_i8 v[248:251], a[188:189], v[140:141], v[248:251]// 00000000C9F8: D3D700F8 0FE319BC
	v_mfma_i32_16x16x32_i8 v[248:251], a[190:191], v[142:143], v[248:251]// 00000000CA00: D3D700F8 0FE31DBE
	v_mfma_i32_16x16x32_i8 v[252:255], a[176:177], v[160:161], 0// 00000000CA08: D3D700FC 0A0341B0
	buffer_load_dwordx4 a[56:59], v51, s[12:15], 0 offen offset:2048// 00000000CA10: E05C1800 80833833
	v_mfma_i32_16x16x32_i8 v[252:255], a[178:179], v[162:163], v[252:255]// 00000000CA18: D3D700FC 0FF345B2
	v_mfma_i32_16x16x32_i8 v[252:255], a[180:181], v[164:165], v[252:255]// 00000000CA20: D3D700FC 0FF349B4
	v_mfma_i32_16x16x32_i8 v[252:255], a[182:183], v[166:167], v[252:255]// 00000000CA28: D3D700FC 0FF34DB6
	v_mfma_i32_16x16x32_i8 v[252:255], a[184:185], v[168:169], v[252:255]// 00000000CA30: D3D700FC 0FF351B8
	buffer_load_dwordx4 a[60:63], v51, s[12:15], 0 offen offset:3072// 00000000CA38: E05C1C00 80833C33
	s_add_u32 s12, s78, s12                                    // 00000000CA40: 800C0C4E
	s_addc_u32 s13, 0, s13                                     // 00000000CA44: 820D0D80
	v_mfma_i32_16x16x32_i8 v[252:255], a[186:187], v[170:171], v[252:255]// 00000000CA48: D3D700FC 0FF355BA
	v_mfma_i32_16x16x32_i8 v[252:255], a[188:189], v[172:173], v[252:255]// 00000000CA50: D3D700FC 0FF359BC
	v_mfma_i32_16x16x32_i8 v[252:255], a[190:191], v[174:175], v[252:255]// 00000000CA58: D3D700FC 0FF35DBE
	s_waitcnt vmcnt(41)                                        // 00000000CA60: BF8C8F79
	v_mfma_i32_16x16x32_i8 v[224:227], a[192:193], v[144:145], v[224:227]// 00000000CA64: D3D700E0 0F8321C0
	buffer_load_dwordx4 a[64:67], v48, s[12:15], 0 offen       // 00000000CA6C: E05C1000 80834030
	v_mfma_i32_16x16x32_i8 v[224:227], a[194:195], v[146:147], v[224:227]// 00000000CA74: D3D700E0 0F8325C2
	ds_write_b64 v3, v[192:193] offset:18432                   // 00000000CA7C: D89A4800 0000C003
	v_mfma_i32_16x16x32_i8 v[224:227], a[196:197], v[148:149], v[224:227]// 00000000CA84: D3D700E0 0F8329C4
	v_mfma_i32_16x16x32_i8 v[224:227], a[198:199], v[150:151], v[224:227]// 00000000CA8C: D3D700E0 0F832DC6
	ds_write_b64 v3, v[194:195] offset:27136                   // 00000000CA94: D89A6A00 0000C203
	v_mfma_i32_16x16x32_i8 v[224:227], a[200:201], v[152:153], v[224:227]// 00000000CA9C: D3D700E0 0F8331C8
	buffer_load_dwordx4 a[68:71], v48, s[12:15], 0 offen offset:1024// 00000000CAA4: E05C1400 80834430
	v_mfma_i32_16x16x32_i8 v[224:227], a[202:203], v[154:155], v[224:227]// 00000000CAAC: D3D700E0 0F8335CA
	ds_write_b64 v3, v[196:197] offset:20608                   // 00000000CAB4: D89A5080 0000C403
	v_mfma_i32_16x16x32_i8 v[224:227], a[204:205], v[156:157], v[224:227]// 00000000CABC: D3D700E0 0F8339CC
	v_mfma_i32_16x16x32_i8 v[224:227], a[206:207], v[158:159], v[224:227]// 00000000CAC4: D3D700E0 0F833DCE
	ds_write_b64 v3, v[198:199] offset:29312                   // 00000000CACC: D89A7280 0000C603
	v_mfma_i32_16x16x32_i8 v[228:231], a[192:193], v[176:177], v[228:231]// 00000000CAD4: D3D700E4 0F9361C0
	buffer_load_dwordx4 a[72:75], v48, s[12:15], 0 offen offset:2048// 00000000CADC: E05C1800 80834830
	v_mfma_i32_16x16x32_i8 v[228:231], a[194:195], v[178:179], v[228:231]// 00000000CAE4: D3D700E4 0F9365C2
	ds_write_b64 v3, v[200:201] offset:22784                   // 00000000CAEC: D89A5900 0000C803
	v_mfma_i32_16x16x32_i8 v[228:231], a[196:197], v[180:181], v[228:231]// 00000000CAF4: D3D700E4 0F9369C4
	v_mfma_i32_16x16x32_i8 v[228:231], a[198:199], v[182:183], v[228:231]// 00000000CAFC: D3D700E4 0F936DC6
	ds_write_b64 v3, v[202:203] offset:31488                   // 00000000CB04: D89A7B00 0000CA03
	v_mfma_i32_16x16x32_i8 v[228:231], a[200:201], v[184:185], v[228:231]// 00000000CB0C: D3D700E4 0F9371C8
	buffer_load_dwordx4 a[76:79], v48, s[12:15], 0 offen offset:3072// 00000000CB14: E05C1C00 80834C30
	v_mfma_i32_16x16x32_i8 v[228:231], a[202:203], v[186:187], v[228:231]// 00000000CB1C: D3D700E4 0F9375CA
	ds_write_b64 v3, v[204:205] offset:24960                   // 00000000CB24: D89A6180 0000CC03
	v_mfma_i32_16x16x32_i8 v[228:231], a[204:205], v[188:189], v[228:231]// 00000000CB2C: D3D700E4 0F9379CC
	v_mfma_i32_16x16x32_i8 v[228:231], a[206:207], v[190:191], v[228:231]// 00000000CB34: D3D700E4 0F937DCE
	ds_write_b64 v3, v[206:207] offset:33664                   // 00000000CB3C: D89A8380 0000CE03
	v_mfma_i32_16x16x32_i8 v[232:235], a[208:209], v[144:145], v[232:235]// 00000000CB44: D3D700E8 0FA321D0
	buffer_load_dwordx4 a[80:83], v49, s[12:15], 0 offen       // 00000000CB4C: E05C1000 80835031
	v_mfma_i32_16x16x32_i8 v[232:235], a[210:211], v[146:147], v[232:235]// 00000000CB54: D3D700E8 0FA325D2
	v_mfma_i32_16x16x32_i8 v[232:235], a[212:213], v[148:149], v[232:235]// 00000000CB5C: D3D700E8 0FA329D4
	v_mfma_i32_16x16x32_i8 v[232:235], a[214:215], v[150:151], v[232:235]// 00000000CB64: D3D700E8 0FA32DD6
	v_mfma_i32_16x16x32_i8 v[232:235], a[216:217], v[152:153], v[232:235]// 00000000CB6C: D3D700E8 0FA331D8
	buffer_load_dwordx4 a[84:87], v49, s[12:15], 0 offen offset:1024// 00000000CB74: E05C1400 80835431
	v_mfma_i32_16x16x32_i8 v[232:235], a[218:219], v[154:155], v[232:235]// 00000000CB7C: D3D700E8 0FA335DA
	v_mfma_i32_16x16x32_i8 v[232:235], a[220:221], v[156:157], v[232:235]// 00000000CB84: D3D700E8 0FA339DC
	v_mfma_i32_16x16x32_i8 v[232:235], a[222:223], v[158:159], v[232:235]// 00000000CB8C: D3D700E8 0FA33DDE
	v_mfma_i32_16x16x32_i8 v[236:239], a[208:209], v[176:177], v[236:239]// 00000000CB94: D3D700EC 0FB361D0
	buffer_load_dwordx4 a[88:91], v49, s[12:15], 0 offen offset:2048// 00000000CB9C: E05C1800 80835831
	v_mfma_i32_16x16x32_i8 v[236:239], a[210:211], v[178:179], v[236:239]// 00000000CBA4: D3D700EC 0FB365D2
	v_mfma_i32_16x16x32_i8 v[236:239], a[212:213], v[180:181], v[236:239]// 00000000CBAC: D3D700EC 0FB369D4
	v_mfma_i32_16x16x32_i8 v[236:239], a[214:215], v[182:183], v[236:239]// 00000000CBB4: D3D700EC 0FB36DD6
	v_mfma_i32_16x16x32_i8 v[236:239], a[216:217], v[184:185], v[236:239]// 00000000CBBC: D3D700EC 0FB371D8
	buffer_load_dwordx4 a[92:95], v49, s[12:15], 0 offen offset:3072// 00000000CBC4: E05C1C00 80835C31
	v_mfma_i32_16x16x32_i8 v[236:239], a[218:219], v[186:187], v[236:239]// 00000000CBCC: D3D700EC 0FB375DA
	v_mfma_i32_16x16x32_i8 v[236:239], a[220:221], v[188:189], v[236:239]// 00000000CBD4: D3D700EC 0FB379DC
	v_mfma_i32_16x16x32_i8 v[236:239], a[222:223], v[190:191], v[236:239]// 00000000CBDC: D3D700EC 0FB37DDE
	s_waitcnt vmcnt(40)                                        // 00000000CBE4: BF8C8F78
	v_mfma_i32_16x16x32_i8 v[240:243], a[224:225], v[144:145], v[240:243]// 00000000CBE8: D3D700F0 0FC321E0
	buffer_load_dwordx4 a[96:99], v50, s[12:15], 0 offen       // 00000000CBF0: E05C1000 80836032
	v_mfma_i32_16x16x32_i8 v[240:243], a[226:227], v[146:147], v[240:243]// 00000000CBF8: D3D700F0 0FC325E2
	v_mfma_i32_16x16x32_i8 v[240:243], a[228:229], v[148:149], v[240:243]// 00000000CC00: D3D700F0 0FC329E4
	buffer_load_dword v12, v5, s[16:19], 0 offen               // 00000000CC08: E0501000 80040C05
	v_mfma_i32_16x16x32_i8 v[240:243], a[230:231], v[150:151], v[240:243]// 00000000CC10: D3D700F0 0FC32DE6
	v_mfma_i32_16x16x32_i8 v[240:243], a[232:233], v[152:153], v[240:243]// 00000000CC18: D3D700F0 0FC331E8
	buffer_load_dwordx4 a[100:103], v50, s[12:15], 0 offen offset:1024// 00000000CC20: E05C1400 80836432
	v_mfma_i32_16x16x32_i8 v[240:243], a[234:235], v[154:155], v[240:243]// 00000000CC28: D3D700F0 0FC335EA
	v_mfma_i32_16x16x32_i8 v[240:243], a[236:237], v[156:157], v[240:243]// 00000000CC30: D3D700F0 0FC339EC
	v_mfma_i32_16x16x32_i8 v[240:243], a[238:239], v[158:159], v[240:243]// 00000000CC38: D3D700F0 0FC33DEE
	v_mfma_i32_16x16x32_i8 v[244:247], a[224:225], v[176:177], v[244:247]// 00000000CC40: D3D700F4 0FD361E0
	buffer_load_dwordx4 a[104:107], v50, s[12:15], 0 offen offset:2048// 00000000CC48: E05C1800 80836832
	v_mfma_i32_16x16x32_i8 v[244:247], a[226:227], v[178:179], v[244:247]// 00000000CC50: D3D700F4 0FD365E2
	v_mfma_i32_16x16x32_i8 v[244:247], a[228:229], v[180:181], v[244:247]// 00000000CC58: D3D700F4 0FD369E4
	s_add_u32 s60, 0x200, s80                                  // 00000000CC60: 803C50FF 00000200
	s_cmp_lt_u32 s60, s81                                      // 00000000CC68: BF0A513C
	v_mfma_i32_16x16x32_i8 v[244:247], a[230:231], v[182:183], v[244:247]// 00000000CC6C: D3D700F4 0FD36DE6
	s_cselect_b32 s56, s56, 0                                  // 00000000CC74: 85388038
	s_cselect_b32 s78, s78, 0                                  // 00000000CC78: 854E804E
	s_cselect_b32 s79, s79, 0                                  // 00000000CC7C: 854F804F
	v_mfma_i32_16x16x32_i8 v[244:247], a[232:233], v[184:185], v[244:247]// 00000000CC80: D3D700F4 0FD371E8
	buffer_load_dwordx4 a[108:111], v50, s[12:15], 0 offen offset:3072// 00000000CC88: E05C1C00 80836C32
	v_mfma_i32_16x16x32_i8 v[244:247], a[234:235], v[186:187], v[244:247]// 00000000CC90: D3D700F4 0FD375EA
	v_mfma_i32_16x16x32_i8 v[244:247], a[236:237], v[188:189], v[244:247]// 00000000CC98: D3D700F4 0FD379EC
	s_add_u32 s16, s79, s16                                    // 00000000CCA0: 8010104F
	s_addc_u32 s17, 0, s17                                     // 00000000CCA4: 82111180
	v_mfma_i32_16x16x32_i8 v[244:247], a[238:239], v[190:191], v[244:247]// 00000000CCA8: D3D700F4 0FD37DEE
	v_mfma_i32_16x16x32_i8 v[248:251], a[240:241], v[144:145], v[248:251]// 00000000CCB0: D3D700F8 0FE321F0
	buffer_load_dwordx4 a[112:115], v51, s[12:15], 0 offen     // 00000000CCB8: E05C1000 80837033
	v_mfma_i32_16x16x32_i8 v[248:251], a[242:243], v[146:147], v[248:251]// 00000000CCC0: D3D700F8 0FE325F2
	v_mfma_i32_16x16x32_i8 v[248:251], a[244:245], v[148:149], v[248:251]// 00000000CCC8: D3D700F8 0FE329F4
	v_mfma_i32_16x16x32_i8 v[248:251], a[246:247], v[150:151], v[248:251]// 00000000CCD0: D3D700F8 0FE32DF6
	v_mfma_i32_16x16x32_i8 v[248:251], a[248:249], v[152:153], v[248:251]// 00000000CCD8: D3D700F8 0FE331F8
	buffer_load_dwordx4 a[116:119], v51, s[12:15], 0 offen offset:1024// 00000000CCE0: E05C1400 80837433
	v_mfma_i32_16x16x32_i8 v[248:251], a[250:251], v[154:155], v[248:251]// 00000000CCE8: D3D700F8 0FE335FA
	v_mfma_i32_16x16x32_i8 v[248:251], a[252:253], v[156:157], v[248:251]// 00000000CCF0: D3D700F8 0FE339FC
	v_mfma_i32_16x16x32_i8 v[248:251], a[254:255], v[158:159], v[248:251]// 00000000CCF8: D3D700F8 0FE33DFE
	v_mfma_i32_16x16x32_i8 v[252:255], a[240:241], v[176:177], v[252:255]// 00000000CD00: D3D700FC 0FF361F0
	buffer_load_dwordx4 a[120:123], v51, s[12:15], 0 offen offset:2048// 00000000CD08: E05C1800 80837833
	v_mfma_i32_16x16x32_i8 v[252:255], a[242:243], v[178:179], v[252:255]// 00000000CD10: D3D700FC 0FF365F2
	v_mfma_i32_16x16x32_i8 v[252:255], a[244:245], v[180:181], v[252:255]// 00000000CD18: D3D700FC 0FF369F4
	v_mfma_i32_16x16x32_i8 v[252:255], a[246:247], v[182:183], v[252:255]// 00000000CD20: D3D700FC 0FF36DF6
	v_mfma_i32_16x16x32_i8 v[252:255], a[248:249], v[184:185], v[252:255]// 00000000CD28: D3D700FC 0FF371F8
	buffer_load_dwordx4 a[124:127], v51, s[12:15], 0 offen offset:3072// 00000000CD30: E05C1C00 80837C33
	v_mfma_i32_16x16x32_i8 v[252:255], a[250:251], v[186:187], v[252:255]// 00000000CD38: D3D700FC 0FF375FA
	v_mfma_i32_16x16x32_i8 v[252:255], a[252:253], v[188:189], v[252:255]// 00000000CD40: D3D700FC 0FF379FC
	s_add_u32 s12, s56, s12                                    // 00000000CD48: 800C0C38
	s_addc_u32 s13, 0, s13                                     // 00000000CD4C: 820D0D80
	v_mfma_i32_16x16x32_i8 v[252:255], a[254:255], v[190:191], v[252:255]// 00000000CD50: D3D700FC 0FF37DFE
	v_mov_b32_e32 v96, v24                                     // 00000000CD58: 7EC00318
	v_mov_b32_e32 v100, v20                                    // 00000000CD5C: 7EC80314
	v_mov_b32_e32 v97, v24                                     // 00000000CD60: 7EC20318
	v_mov_b32_e32 v101, v20                                    // 00000000CD64: 7ECA0314
	v_mov_b32_e32 v98, v25                                     // 00000000CD68: 7EC40319
	v_mov_b32_e32 v102, v21                                    // 00000000CD6C: 7ECC0315
	v_mov_b32_e32 v99, v25                                     // 00000000CD70: 7EC60319
	v_mov_b32_e32 v103, v21                                    // 00000000CD74: 7ECE0315
	v_cvt_f32_i32_e32 v224, v224                               // 00000000CD78: 7FC00BE0
	v_cvt_f32_i32_e32 v225, v225                               // 00000000CD7C: 7FC20BE1
	v_cvt_f32_i32_e32 v226, v226                               // 00000000CD80: 7FC40BE2
	v_cvt_f32_i32_e32 v227, v227                               // 00000000CD84: 7FC60BE3
	v_pk_mul_f32 v[224:225], v[96:97], v[224:225]              // 00000000CD88: D3B140E0 1803C160
	v_pk_mul_f32 v[226:227], v[96:97], v[226:227]              // 00000000CD90: D3B140E2 1803C560
	v_mul_f32_dpp v224, v13, v224 row_newbcast:0 row_mask:0xf bank_mask:0xf// 00000000CD98: 0BC1C0FA FF01500D
	v_mul_f32_dpp v225, v13, v225 row_newbcast:1 row_mask:0xf bank_mask:0xf// 00000000CDA0: 0BC3C2FA FF01510D
	v_mul_f32_dpp v226, v13, v226 row_newbcast:2 row_mask:0xf bank_mask:0xf// 00000000CDA8: 0BC5C4FA FF01520D
	v_mul_f32_dpp v227, v13, v227 row_newbcast:3 row_mask:0xf bank_mask:0xf// 00000000CDB0: 0BC7C6FA FF01530D
	v_pk_mul_f32 v[224:225], v[100:101], v[224:225]            // 00000000CDB8: D3B140E0 1803C164
	v_pk_mul_f32 v[226:227], v[100:101], v[226:227]            // 00000000CDC0: D3B140E2 1803C564
	v_cvt_f32_i32_e32 v228, v228                               // 00000000CDC8: 7FC80BE4
	v_cvt_f32_i32_e32 v229, v229                               // 00000000CDCC: 7FCA0BE5
	v_cvt_f32_i32_e32 v230, v230                               // 00000000CDD0: 7FCC0BE6
	v_cvt_f32_i32_e32 v231, v231                               // 00000000CDD4: 7FCE0BE7
	v_pk_mul_f32 v[228:229], v[98:99], v[228:229]              // 00000000CDD8: D3B140E4 1803C962
	v_pk_mul_f32 v[230:231], v[98:99], v[230:231]              // 00000000CDE0: D3B140E6 1803CD62
	v_mul_f32_dpp v228, v13, v228 row_newbcast:0 row_mask:0xf bank_mask:0xf// 00000000CDE8: 0BC9C8FA FF01500D
	v_mul_f32_dpp v229, v13, v229 row_newbcast:1 row_mask:0xf bank_mask:0xf// 00000000CDF0: 0BCBCAFA FF01510D
	v_mul_f32_dpp v230, v13, v230 row_newbcast:2 row_mask:0xf bank_mask:0xf// 00000000CDF8: 0BCDCCFA FF01520D
	v_mul_f32_dpp v231, v13, v231 row_newbcast:3 row_mask:0xf bank_mask:0xf// 00000000CE00: 0BCFCEFA FF01530D
	v_pk_mul_f32 v[228:229], v[102:103], v[228:229]            // 00000000CE08: D3B140E4 1803C966
	v_pk_mul_f32 v[230:231], v[102:103], v[230:231]            // 00000000CE10: D3B140E6 1803CD66
	v_cvt_f32_i32_e32 v232, v232                               // 00000000CE18: 7FD00BE8
	v_cvt_f32_i32_e32 v233, v233                               // 00000000CE1C: 7FD20BE9
	v_cvt_f32_i32_e32 v234, v234                               // 00000000CE20: 7FD40BEA
	v_cvt_f32_i32_e32 v235, v235                               // 00000000CE24: 7FD60BEB
	v_pk_mul_f32 v[232:233], v[96:97], v[232:233]              // 00000000CE28: D3B140E8 1803D160
	v_pk_mul_f32 v[234:235], v[96:97], v[234:235]              // 00000000CE30: D3B140EA 1803D560
	v_mul_f32_dpp v232, v13, v232 row_newbcast:4 row_mask:0xf bank_mask:0xf// 00000000CE38: 0BD1D0FA FF01540D
	v_mul_f32_dpp v233, v13, v233 row_newbcast:5 row_mask:0xf bank_mask:0xf// 00000000CE40: 0BD3D2FA FF01550D
	v_mul_f32_dpp v234, v13, v234 row_newbcast:6 row_mask:0xf bank_mask:0xf// 00000000CE48: 0BD5D4FA FF01560D
	v_mul_f32_dpp v235, v13, v235 row_newbcast:7 row_mask:0xf bank_mask:0xf// 00000000CE50: 0BD7D6FA FF01570D
	v_pk_mul_f32 v[232:233], v[100:101], v[232:233]            // 00000000CE58: D3B140E8 1803D164
	v_pk_mul_f32 v[234:235], v[100:101], v[234:235]            // 00000000CE60: D3B140EA 1803D564
	v_cvt_f32_i32_e32 v236, v236                               // 00000000CE68: 7FD80BEC
	v_cvt_f32_i32_e32 v237, v237                               // 00000000CE6C: 7FDA0BED
	v_cvt_f32_i32_e32 v238, v238                               // 00000000CE70: 7FDC0BEE
	v_cvt_f32_i32_e32 v239, v239                               // 00000000CE74: 7FDE0BEF
	v_pk_mul_f32 v[236:237], v[98:99], v[236:237]              // 00000000CE78: D3B140EC 1803D962
	v_pk_mul_f32 v[238:239], v[98:99], v[238:239]              // 00000000CE80: D3B140EE 1803DD62
	v_mul_f32_dpp v236, v13, v236 row_newbcast:4 row_mask:0xf bank_mask:0xf// 00000000CE88: 0BD9D8FA FF01540D
	v_mul_f32_dpp v237, v13, v237 row_newbcast:5 row_mask:0xf bank_mask:0xf// 00000000CE90: 0BDBDAFA FF01550D
	v_mul_f32_dpp v238, v13, v238 row_newbcast:6 row_mask:0xf bank_mask:0xf// 00000000CE98: 0BDDDCFA FF01560D
	v_mul_f32_dpp v239, v13, v239 row_newbcast:7 row_mask:0xf bank_mask:0xf// 00000000CEA0: 0BDFDEFA FF01570D
	v_pk_mul_f32 v[236:237], v[102:103], v[236:237]            // 00000000CEA8: D3B140EC 1803D966
	v_pk_mul_f32 v[238:239], v[102:103], v[238:239]            // 00000000CEB0: D3B140EE 1803DD66
	v_cvt_f32_i32_e32 v240, v240                               // 00000000CEB8: 7FE00BF0
	v_cvt_f32_i32_e32 v241, v241                               // 00000000CEBC: 7FE20BF1
	v_cvt_f32_i32_e32 v242, v242                               // 00000000CEC0: 7FE40BF2
	v_cvt_f32_i32_e32 v243, v243                               // 00000000CEC4: 7FE60BF3
	v_pk_mul_f32 v[240:241], v[96:97], v[240:241]              // 00000000CEC8: D3B140F0 1803E160
	v_pk_mul_f32 v[242:243], v[96:97], v[242:243]              // 00000000CED0: D3B140F2 1803E560
	v_mul_f32_dpp v240, v13, v240 row_newbcast:8 row_mask:0xf bank_mask:0xf// 00000000CED8: 0BE1E0FA FF01580D
	v_mul_f32_dpp v241, v13, v241 row_newbcast:9 row_mask:0xf bank_mask:0xf// 00000000CEE0: 0BE3E2FA FF01590D
	v_mul_f32_dpp v242, v13, v242 row_newbcast:10 row_mask:0xf bank_mask:0xf// 00000000CEE8: 0BE5E4FA FF015A0D
	v_mul_f32_dpp v243, v13, v243 row_newbcast:11 row_mask:0xf bank_mask:0xf// 00000000CEF0: 0BE7E6FA FF015B0D
	v_pk_mul_f32 v[240:241], v[100:101], v[240:241]            // 00000000CEF8: D3B140F0 1803E164
	v_pk_mul_f32 v[242:243], v[100:101], v[242:243]            // 00000000CF00: D3B140F2 1803E564
	v_cvt_f32_i32_e32 v244, v244                               // 00000000CF08: 7FE80BF4
	v_cvt_f32_i32_e32 v245, v245                               // 00000000CF0C: 7FEA0BF5
	v_cvt_f32_i32_e32 v246, v246                               // 00000000CF10: 7FEC0BF6
	v_cvt_f32_i32_e32 v247, v247                               // 00000000CF14: 7FEE0BF7
	v_pk_mul_f32 v[244:245], v[98:99], v[244:245]              // 00000000CF18: D3B140F4 1803E962
	v_pk_mul_f32 v[246:247], v[98:99], v[246:247]              // 00000000CF20: D3B140F6 1803ED62
	v_mul_f32_dpp v244, v13, v244 row_newbcast:8 row_mask:0xf bank_mask:0xf// 00000000CF28: 0BE9E8FA FF01580D
	v_mul_f32_dpp v245, v13, v245 row_newbcast:9 row_mask:0xf bank_mask:0xf// 00000000CF30: 0BEBEAFA FF01590D
	v_mul_f32_dpp v246, v13, v246 row_newbcast:10 row_mask:0xf bank_mask:0xf// 00000000CF38: 0BEDECFA FF015A0D
	v_mul_f32_dpp v247, v13, v247 row_newbcast:11 row_mask:0xf bank_mask:0xf// 00000000CF40: 0BEFEEFA FF015B0D
	v_pk_mul_f32 v[244:245], v[102:103], v[244:245]            // 00000000CF48: D3B140F4 1803E966
	v_pk_mul_f32 v[246:247], v[102:103], v[246:247]            // 00000000CF50: D3B140F6 1803ED66
	v_cvt_f32_i32_e32 v248, v248                               // 00000000CF58: 7FF00BF8
	v_cvt_f32_i32_e32 v249, v249                               // 00000000CF5C: 7FF20BF9
	v_cvt_f32_i32_e32 v250, v250                               // 00000000CF60: 7FF40BFA
	v_cvt_f32_i32_e32 v251, v251                               // 00000000CF64: 7FF60BFB
	v_pk_mul_f32 v[248:249], v[96:97], v[248:249]              // 00000000CF68: D3B140F8 1803F160
	v_pk_mul_f32 v[250:251], v[96:97], v[250:251]              // 00000000CF70: D3B140FA 1803F560
	v_mul_f32_dpp v248, v13, v248 row_newbcast:12 row_mask:0xf bank_mask:0xf// 00000000CF78: 0BF1F0FA FF015C0D
	v_mul_f32_dpp v249, v13, v249 row_newbcast:13 row_mask:0xf bank_mask:0xf// 00000000CF80: 0BF3F2FA FF015D0D
	v_mul_f32_dpp v250, v13, v250 row_newbcast:14 row_mask:0xf bank_mask:0xf// 00000000CF88: 0BF5F4FA FF015E0D
	v_mul_f32_dpp v251, v13, v251 row_newbcast:15 row_mask:0xf bank_mask:0xf// 00000000CF90: 0BF7F6FA FF015F0D
	v_pk_mul_f32 v[248:249], v[100:101], v[248:249]            // 00000000CF98: D3B140F8 1803F164
	v_pk_mul_f32 v[250:251], v[100:101], v[250:251]            // 00000000CFA0: D3B140FA 1803F564
	v_cvt_f32_i32_e32 v252, v252                               // 00000000CFA8: 7FF80BFC
	v_cvt_f32_i32_e32 v253, v253                               // 00000000CFAC: 7FFA0BFD
	v_cvt_f32_i32_e32 v254, v254                               // 00000000CFB0: 7FFC0BFE
	v_cvt_f32_i32_e32 v255, v255                               // 00000000CFB4: 7FFE0BFF
	v_pk_mul_f32 v[252:253], v[98:99], v[252:253]              // 00000000CFB8: D3B140FC 1803F962
	v_pk_mul_f32 v[254:255], v[98:99], v[254:255]              // 00000000CFC0: D3B140FE 1803FD62
	v_mul_f32_dpp v252, v13, v252 row_newbcast:12 row_mask:0xf bank_mask:0xf// 00000000CFC8: 0BF9F8FA FF015C0D
	v_mul_f32_dpp v253, v13, v253 row_newbcast:13 row_mask:0xf bank_mask:0xf// 00000000CFD0: 0BFBFAFA FF015D0D
	v_mul_f32_dpp v254, v13, v254 row_newbcast:14 row_mask:0xf bank_mask:0xf// 00000000CFD8: 0BFDFCFA FF015E0D
	v_mul_f32_dpp v255, v13, v255 row_newbcast:15 row_mask:0xf bank_mask:0xf// 00000000CFE0: 0BFFFEFA FF015F0D
	v_pk_mul_f32 v[252:253], v[102:103], v[252:253]            // 00000000CFE8: D3B140FC 1803F966
	v_pk_mul_f32 v[254:255], v[102:103], v[254:255]            // 00000000CFF0: D3B140FE 1803FD66
	v_cvt_pkrtz_f16_f32 v224, v224, v225                       // 00000000CFF8: D29600E0 0003C3E0
	v_cvt_pkrtz_f16_f32 v225, v226, v227                       // 00000000D000: D29600E1 0003C7E2
	v_cvt_pkrtz_f16_f32 v226, v228, v229                       // 00000000D008: D29600E2 0003CBE4
	v_cvt_pkrtz_f16_f32 v227, v230, v231                       // 00000000D010: D29600E3 0003CFE6
	v_cvt_pkrtz_f16_f32 v228, v232, v233                       // 00000000D018: D29600E4 0003D3E8
	v_cvt_pkrtz_f16_f32 v229, v234, v235                       // 00000000D020: D29600E5 0003D7EA
	v_cvt_pkrtz_f16_f32 v230, v236, v237                       // 00000000D028: D29600E6 0003DBEC
	v_cvt_pkrtz_f16_f32 v231, v238, v239                       // 00000000D030: D29600E7 0003DFEE
	v_cvt_pkrtz_f16_f32 v232, v240, v241                       // 00000000D038: D29600E8 0003E3F0
	v_cvt_pkrtz_f16_f32 v233, v242, v243                       // 00000000D040: D29600E9 0003E7F2
	v_cvt_pkrtz_f16_f32 v234, v244, v245                       // 00000000D048: D29600EA 0003EBF4
	v_cvt_pkrtz_f16_f32 v235, v246, v247                       // 00000000D050: D29600EB 0003EFF6
	v_cvt_pkrtz_f16_f32 v236, v248, v249                       // 00000000D058: D29600EC 0003F3F8
	v_cvt_pkrtz_f16_f32 v237, v250, v251                       // 00000000D060: D29600ED 0003F7FA
	v_cvt_pkrtz_f16_f32 v238, v252, v253                       // 00000000D068: D29600EE 0003FBFC
	v_cvt_pkrtz_f16_f32 v239, v254, v255                       // 00000000D070: D29600EF 0003FFFE
	s_mov_b64 exec, s[20:21]                                   // 00000000D078: BEFE0114
	global_atomic_pk_add_f16 v80, v64, s[8:9]                  // 00000000D07C: DD388000 00084050
	s_mov_b64 exec, s[36:37]                                   // 00000000D084: BEFE0124
	s_mov_b64 exec, s[20:21]                                   // 00000000D088: BEFE0114
	global_atomic_pk_add_f16 v80, v65, s[8:9] offset:256       // 00000000D08C: DD388100 00084150
	s_mov_b64 exec, s[36:37]                                   // 00000000D094: BEFE0124
	s_mov_b64 exec, s[22:23]                                   // 00000000D098: BEFE0116
	global_atomic_pk_add_f16 v82, v66, s[8:9]                  // 00000000D09C: DD388000 00084252
	s_mov_b64 exec, s[36:37]                                   // 00000000D0A4: BEFE0124
	s_mov_b64 exec, s[22:23]                                   // 00000000D0A8: BEFE0116
	global_atomic_pk_add_f16 v82, v67, s[8:9] offset:256       // 00000000D0AC: DD388100 00084352
	s_mov_b64 exec, s[36:37]                                   // 00000000D0B4: BEFE0124
	s_mov_b64 exec, s[24:25]                                   // 00000000D0B8: BEFE0118
	global_atomic_pk_add_f16 v84, v68, s[8:9]                  // 00000000D0BC: DD388000 00084454
	s_mov_b64 exec, s[36:37]                                   // 00000000D0C4: BEFE0124
	s_mov_b64 exec, s[24:25]                                   // 00000000D0C8: BEFE0118
	global_atomic_pk_add_f16 v84, v69, s[8:9] offset:256       // 00000000D0CC: DD388100 00084554
	s_mov_b64 exec, s[36:37]                                   // 00000000D0D4: BEFE0124
	s_mov_b64 exec, s[26:27]                                   // 00000000D0D8: BEFE011A
	global_atomic_pk_add_f16 v86, v70, s[8:9]                  // 00000000D0DC: DD388000 00084656
	s_mov_b64 exec, s[36:37]                                   // 00000000D0E4: BEFE0124
	s_mov_b64 exec, s[26:27]                                   // 00000000D0E8: BEFE011A
	global_atomic_pk_add_f16 v86, v71, s[8:9] offset:256       // 00000000D0EC: DD388100 00084756
	s_mov_b64 exec, s[36:37]                                   // 00000000D0F4: BEFE0124
	s_mov_b64 exec, s[28:29]                                   // 00000000D0F8: BEFE011C
	global_atomic_pk_add_f16 v88, v72, s[8:9]                  // 00000000D0FC: DD388000 00084858
	s_mov_b64 exec, s[36:37]                                   // 00000000D104: BEFE0124
	s_mov_b64 exec, s[28:29]                                   // 00000000D108: BEFE011C
	global_atomic_pk_add_f16 v88, v73, s[8:9] offset:256       // 00000000D10C: DD388100 00084958
	s_mov_b64 exec, s[36:37]                                   // 00000000D114: BEFE0124
	s_mov_b64 exec, s[30:31]                                   // 00000000D118: BEFE011E
	global_atomic_pk_add_f16 v90, v74, s[8:9]                  // 00000000D11C: DD388000 00084A5A
	s_mov_b64 exec, s[36:37]                                   // 00000000D124: BEFE0124
	s_mov_b64 exec, s[30:31]                                   // 00000000D128: BEFE011E
	global_atomic_pk_add_f16 v90, v75, s[8:9] offset:256       // 00000000D12C: DD388100 00084B5A
	s_mov_b64 exec, s[36:37]                                   // 00000000D134: BEFE0124
	s_mov_b64 exec, s[32:33]                                   // 00000000D138: BEFE0120
	global_atomic_pk_add_f16 v92, v76, s[8:9]                  // 00000000D13C: DD388000 00084C5C
	s_mov_b64 exec, s[36:37]                                   // 00000000D144: BEFE0124
	s_mov_b64 exec, s[32:33]                                   // 00000000D148: BEFE0120
	global_atomic_pk_add_f16 v92, v77, s[8:9] offset:256       // 00000000D14C: DD388100 00084D5C
	s_mov_b64 exec, s[36:37]                                   // 00000000D154: BEFE0124
	s_mov_b64 exec, s[34:35]                                   // 00000000D158: BEFE0122
	global_atomic_pk_add_f16 v94, v78, s[8:9]                  // 00000000D15C: DD388000 00084E5E
	s_mov_b64 exec, s[36:37]                                   // 00000000D164: BEFE0124
	s_mov_b64 exec, s[34:35]                                   // 00000000D168: BEFE0122
	global_atomic_pk_add_f16 v94, v79, s[8:9] offset:256       // 00000000D16C: DD388100 00084F5E
	s_mov_b64 exec, s[36:37]                                   // 00000000D174: BEFE0124
	s_cmp_ge_u32 s80, 0x200                                    // 00000000D178: BF09FF50 00000200
	s_cselect_b32 s59, 0x200, s59                              // 00000000D180: 853B3BFF 00000200
	s_add_u32 s8, s59, s8                                      // 00000000D188: 8008083B
	s_addc_u32 s9, 0, s9                                       // 00000000D18C: 82090980
	s_addk_i32 s80, 0x100                                      // 00000000D190: B7500100
	s_cmp_lt_i32 s80, s81                                      // 00000000D194: BF045150
	s_cbranch_scc0 label_166D                                  // 00000000D198: BF84ED86
	s_branch label_23BF                                        // 00000000D19C: BF82FAD7

000000000000d1a0 <label_28E8>:
	s_waitcnt lgkmcnt(0)                                       // 00000000D1A0: BF8CC07F
	s_barrier                                                  // 00000000D1A4: BF8A0000
	ds_read_b32 v64, v4 offset:18432                           // 00000000D1A8: D86C4800 40000004
	ds_read_b32 v65, v4 offset:22784                           // 00000000D1B0: D86C5900 41000004
	ds_read_b32 v66, v4 offset:18464                           // 00000000D1B8: D86C4820 42000004
	ds_read_b32 v67, v4 offset:22816                           // 00000000D1C0: D86C5920 43000004
	ds_read_b32 v68, v4 offset:18496                           // 00000000D1C8: D86C4840 44000004
	ds_read_b32 v69, v4 offset:22848                           // 00000000D1D0: D86C5940 45000004
	ds_read_b32 v70, v4 offset:18528                           // 00000000D1D8: D86C4860 46000004
	ds_read_b32 v71, v4 offset:22880                           // 00000000D1E0: D86C5960 47000004
	ds_read_b32 v72, v4 offset:27136                           // 00000000D1E8: D86C6A00 48000004
	ds_read_b32 v73, v4 offset:31488                           // 00000000D1F0: D86C7B00 49000004
	ds_read_b32 v74, v4 offset:27168                           // 00000000D1F8: D86C6A20 4A000004
	ds_read_b32 v75, v4 offset:31520                           // 00000000D200: D86C7B20 4B000004
	ds_read_b32 v76, v4 offset:27200                           // 00000000D208: D86C6A40 4C000004
	ds_read_b32 v77, v4 offset:31552                           // 00000000D210: D86C7B40 4D000004
	ds_read_b32 v78, v4 offset:27232                           // 00000000D218: D86C6A60 4E000004
	ds_read_b32 v79, v4 offset:31584                           // 00000000D220: D86C7B60 4F000004
	s_waitcnt lgkmcnt(0)                                       // 00000000D228: BF8CC07F
	s_mov_b64 exec, s[20:21]                                   // 00000000D22C: BEFE0114
	global_atomic_pk_add_f16 v80, v64, s[8:9]                  // 00000000D230: DD388000 00084050
	s_mov_b64 exec, s[36:37]                                   // 00000000D238: BEFE0124
	s_mov_b64 exec, s[20:21]                                   // 00000000D23C: BEFE0114
	global_atomic_pk_add_f16 v80, v65, s[8:9] offset:256       // 00000000D240: DD388100 00084150
	s_mov_b64 exec, s[36:37]                                   // 00000000D248: BEFE0124
	s_mov_b64 exec, s[22:23]                                   // 00000000D24C: BEFE0116
	global_atomic_pk_add_f16 v82, v66, s[8:9]                  // 00000000D250: DD388000 00084252
	s_mov_b64 exec, s[36:37]                                   // 00000000D258: BEFE0124
	s_mov_b64 exec, s[22:23]                                   // 00000000D25C: BEFE0116
	global_atomic_pk_add_f16 v82, v67, s[8:9] offset:256       // 00000000D260: DD388100 00084352
	s_mov_b64 exec, s[36:37]                                   // 00000000D268: BEFE0124
	s_mov_b64 exec, s[24:25]                                   // 00000000D26C: BEFE0118
	global_atomic_pk_add_f16 v84, v68, s[8:9]                  // 00000000D270: DD388000 00084454
	s_mov_b64 exec, s[36:37]                                   // 00000000D278: BEFE0124
	s_mov_b64 exec, s[24:25]                                   // 00000000D27C: BEFE0118
	global_atomic_pk_add_f16 v84, v69, s[8:9] offset:256       // 00000000D280: DD388100 00084554
	s_mov_b64 exec, s[36:37]                                   // 00000000D288: BEFE0124
	s_mov_b64 exec, s[26:27]                                   // 00000000D28C: BEFE011A
	global_atomic_pk_add_f16 v86, v70, s[8:9]                  // 00000000D290: DD388000 00084656
	s_mov_b64 exec, s[36:37]                                   // 00000000D298: BEFE0124
	s_mov_b64 exec, s[26:27]                                   // 00000000D29C: BEFE011A
	global_atomic_pk_add_f16 v86, v71, s[8:9] offset:256       // 00000000D2A0: DD388100 00084756
	s_mov_b64 exec, s[36:37]                                   // 00000000D2A8: BEFE0124
	s_mov_b64 exec, s[28:29]                                   // 00000000D2AC: BEFE011C
	global_atomic_pk_add_f16 v88, v72, s[8:9]                  // 00000000D2B0: DD388000 00084858
	s_mov_b64 exec, s[36:37]                                   // 00000000D2B8: BEFE0124
	s_mov_b64 exec, s[28:29]                                   // 00000000D2BC: BEFE011C
	global_atomic_pk_add_f16 v88, v73, s[8:9] offset:256       // 00000000D2C0: DD388100 00084958
	s_mov_b64 exec, s[36:37]                                   // 00000000D2C8: BEFE0124
	s_mov_b64 exec, s[30:31]                                   // 00000000D2CC: BEFE011E
	global_atomic_pk_add_f16 v90, v74, s[8:9]                  // 00000000D2D0: DD388000 00084A5A
	s_mov_b64 exec, s[36:37]                                   // 00000000D2D8: BEFE0124
	s_mov_b64 exec, s[30:31]                                   // 00000000D2DC: BEFE011E
	global_atomic_pk_add_f16 v90, v75, s[8:9] offset:256       // 00000000D2E0: DD388100 00084B5A
	s_mov_b64 exec, s[36:37]                                   // 00000000D2E8: BEFE0124
	s_mov_b64 exec, s[32:33]                                   // 00000000D2EC: BEFE0120
	global_atomic_pk_add_f16 v92, v76, s[8:9]                  // 00000000D2F0: DD388000 00084C5C
	s_mov_b64 exec, s[36:37]                                   // 00000000D2F8: BEFE0124
	s_mov_b64 exec, s[32:33]                                   // 00000000D2FC: BEFE0120
	global_atomic_pk_add_f16 v92, v77, s[8:9] offset:256       // 00000000D300: DD388100 00084D5C
	s_mov_b64 exec, s[36:37]                                   // 00000000D308: BEFE0124
	s_mov_b64 exec, s[34:35]                                   // 00000000D30C: BEFE0122
	global_atomic_pk_add_f16 v94, v78, s[8:9]                  // 00000000D310: DD388000 00084E5E
	s_mov_b64 exec, s[36:37]                                   // 00000000D318: BEFE0124
	s_mov_b64 exec, s[34:35]                                   // 00000000D31C: BEFE0122
	global_atomic_pk_add_f16 v94, v79, s[8:9] offset:256       // 00000000D320: DD388100 00084F5E
	s_mov_b64 exec, s[36:37]                                   // 00000000D328: BEFE0124
	s_mov_b32 s59, 0x200                                       // 00000000D32C: BEBB00FF 00000200
	s_add_u32 s8, s59, s8                                      // 00000000D334: 8008083B
	s_addc_u32 s9, 0, s9                                       // 00000000D338: 82090980
	ds_write_b64 v3, v[224:225] offset:35840                   // 00000000D33C: D89A8C00 0000E003
	ds_write_b64 v3, v[226:227] offset:44544                   // 00000000D344: D89AAE00 0000E203
	ds_write_b64 v3, v[228:229] offset:38016                   // 00000000D34C: D89A9480 0000E403
	ds_write_b64 v3, v[230:231] offset:46720                   // 00000000D354: D89AB680 0000E603
	ds_write_b64 v3, v[232:233] offset:40192                   // 00000000D35C: D89A9D00 0000E803
	ds_write_b64 v3, v[234:235] offset:48896                   // 00000000D364: D89ABF00 0000EA03
	ds_write_b64 v3, v[236:237] offset:42368                   // 00000000D36C: D89AA580 0000EC03
	ds_write_b64 v3, v[238:239] offset:51072                   // 00000000D374: D89AC780 0000EE03
	s_waitcnt lgkmcnt(0)                                       // 00000000D37C: BF8CC07F
	s_barrier                                                  // 00000000D380: BF8A0000
	ds_read_b32 v64, v4 offset:35840                           // 00000000D384: D86C8C00 40000004
	ds_read_b32 v65, v4 offset:40192                           // 00000000D38C: D86C9D00 41000004
	ds_read_b32 v66, v4 offset:35872                           // 00000000D394: D86C8C20 42000004
	ds_read_b32 v67, v4 offset:40224                           // 00000000D39C: D86C9D20 43000004
	ds_read_b32 v68, v4 offset:35904                           // 00000000D3A4: D86C8C40 44000004
	ds_read_b32 v69, v4 offset:40256                           // 00000000D3AC: D86C9D40 45000004
	ds_read_b32 v70, v4 offset:35936                           // 00000000D3B4: D86C8C60 46000004
	ds_read_b32 v71, v4 offset:40288                           // 00000000D3BC: D86C9D60 47000004
	ds_read_b32 v72, v4 offset:44544                           // 00000000D3C4: D86CAE00 48000004
	ds_read_b32 v73, v4 offset:48896                           // 00000000D3CC: D86CBF00 49000004
	ds_read_b32 v74, v4 offset:44576                           // 00000000D3D4: D86CAE20 4A000004
	ds_read_b32 v75, v4 offset:48928                           // 00000000D3DC: D86CBF20 4B000004
	ds_read_b32 v76, v4 offset:44608                           // 00000000D3E4: D86CAE40 4C000004
	ds_read_b32 v77, v4 offset:48960                           // 00000000D3EC: D86CBF40 4D000004
	ds_read_b32 v78, v4 offset:44640                           // 00000000D3F4: D86CAE60 4E000004
	ds_read_b32 v79, v4 offset:48992                           // 00000000D3FC: D86CBF60 4F000004
	s_waitcnt lgkmcnt(0)                                       // 00000000D404: BF8CC07F
	s_mov_b64 exec, s[20:21]                                   // 00000000D408: BEFE0114
	global_atomic_pk_add_f16 v80, v64, s[8:9]                  // 00000000D40C: DD388000 00084050
	s_mov_b64 exec, s[36:37]                                   // 00000000D414: BEFE0124
	s_mov_b64 exec, s[20:21]                                   // 00000000D418: BEFE0114
	global_atomic_pk_add_f16 v80, v65, s[8:9] offset:256       // 00000000D41C: DD388100 00084150
	s_mov_b64 exec, s[36:37]                                   // 00000000D424: BEFE0124
	s_mov_b64 exec, s[22:23]                                   // 00000000D428: BEFE0116
	global_atomic_pk_add_f16 v82, v66, s[8:9]                  // 00000000D42C: DD388000 00084252
	s_mov_b64 exec, s[36:37]                                   // 00000000D434: BEFE0124
	s_mov_b64 exec, s[22:23]                                   // 00000000D438: BEFE0116
	global_atomic_pk_add_f16 v82, v67, s[8:9] offset:256       // 00000000D43C: DD388100 00084352
	s_mov_b64 exec, s[36:37]                                   // 00000000D444: BEFE0124
	s_mov_b64 exec, s[24:25]                                   // 00000000D448: BEFE0118
	global_atomic_pk_add_f16 v84, v68, s[8:9]                  // 00000000D44C: DD388000 00084454
	s_mov_b64 exec, s[36:37]                                   // 00000000D454: BEFE0124
	s_mov_b64 exec, s[24:25]                                   // 00000000D458: BEFE0118
	global_atomic_pk_add_f16 v84, v69, s[8:9] offset:256       // 00000000D45C: DD388100 00084554
	s_mov_b64 exec, s[36:37]                                   // 00000000D464: BEFE0124
	s_mov_b64 exec, s[26:27]                                   // 00000000D468: BEFE011A
	global_atomic_pk_add_f16 v86, v70, s[8:9]                  // 00000000D46C: DD388000 00084656
	s_mov_b64 exec, s[36:37]                                   // 00000000D474: BEFE0124
	s_mov_b64 exec, s[26:27]                                   // 00000000D478: BEFE011A
	global_atomic_pk_add_f16 v86, v71, s[8:9] offset:256       // 00000000D47C: DD388100 00084756
	s_mov_b64 exec, s[36:37]                                   // 00000000D484: BEFE0124
	s_mov_b64 exec, s[28:29]                                   // 00000000D488: BEFE011C
	global_atomic_pk_add_f16 v88, v72, s[8:9]                  // 00000000D48C: DD388000 00084858
	s_mov_b64 exec, s[36:37]                                   // 00000000D494: BEFE0124
	s_mov_b64 exec, s[28:29]                                   // 00000000D498: BEFE011C
	global_atomic_pk_add_f16 v88, v73, s[8:9] offset:256       // 00000000D49C: DD388100 00084958
	s_mov_b64 exec, s[36:37]                                   // 00000000D4A4: BEFE0124
	s_mov_b64 exec, s[30:31]                                   // 00000000D4A8: BEFE011E
	global_atomic_pk_add_f16 v90, v74, s[8:9]                  // 00000000D4AC: DD388000 00084A5A
	s_mov_b64 exec, s[36:37]                                   // 00000000D4B4: BEFE0124
	s_mov_b64 exec, s[30:31]                                   // 00000000D4B8: BEFE011E
	global_atomic_pk_add_f16 v90, v75, s[8:9] offset:256       // 00000000D4BC: DD388100 00084B5A
	s_mov_b64 exec, s[36:37]                                   // 00000000D4C4: BEFE0124
	s_mov_b64 exec, s[32:33]                                   // 00000000D4C8: BEFE0120
	global_atomic_pk_add_f16 v92, v76, s[8:9]                  // 00000000D4CC: DD388000 00084C5C
	s_mov_b64 exec, s[36:37]                                   // 00000000D4D4: BEFE0124
	s_mov_b64 exec, s[32:33]                                   // 00000000D4D8: BEFE0120
	global_atomic_pk_add_f16 v92, v77, s[8:9] offset:256       // 00000000D4DC: DD388100 00084D5C
	s_mov_b64 exec, s[36:37]                                   // 00000000D4E4: BEFE0124
	s_mov_b64 exec, s[34:35]                                   // 00000000D4E8: BEFE0122
	global_atomic_pk_add_f16 v94, v78, s[8:9]                  // 00000000D4EC: DD388000 00084E5E
	s_mov_b64 exec, s[36:37]                                   // 00000000D4F4: BEFE0124
	s_mov_b64 exec, s[34:35]                                   // 00000000D4F8: BEFE0122
	global_atomic_pk_add_f16 v94, v79, s[8:9] offset:256       // 00000000D4FC: DD388100 00084F5E
	s_mov_b64 exec, s[36:37]                                   // 00000000D504: BEFE0124

000000000000d508 <label_29C2>:
	s_waitcnt vmcnt(0) expcnt(0) lgkmcnt(0)                    // 00000000D508: BF8C0000
	s_endpgm                                                   // 00000000D50C: BF810000
